;; amdgpu-corpus repo=ROCm/rocFFT kind=compiled arch=gfx1030 opt=O3
	.text
	.amdgcn_target "amdgcn-amd-amdhsa--gfx1030"
	.amdhsa_code_object_version 6
	.protected	bluestein_single_fwd_len1320_dim1_sp_op_CI_CI ; -- Begin function bluestein_single_fwd_len1320_dim1_sp_op_CI_CI
	.globl	bluestein_single_fwd_len1320_dim1_sp_op_CI_CI
	.p2align	8
	.type	bluestein_single_fwd_len1320_dim1_sp_op_CI_CI,@function
bluestein_single_fwd_len1320_dim1_sp_op_CI_CI: ; @bluestein_single_fwd_len1320_dim1_sp_op_CI_CI
; %bb.0:
	s_load_dwordx4 s[0:3], s[4:5], 0x28
	v_mul_u32_u24_e32 v1, 0x18e, v0
	v_mov_b32_e32 v57, 0
	v_lshrrev_b32_e32 v1, 16, v1
	v_add_nc_u32_e32 v56, s6, v1
	s_waitcnt lgkmcnt(0)
	v_cmp_gt_u64_e32 vcc_lo, s[0:1], v[56:57]
	s_and_saveexec_b32 s0, vcc_lo
	s_cbranch_execz .LBB0_31
; %bb.1:
	s_clause 0x1
	s_load_dwordx2 s[14:15], s[4:5], 0x0
	s_load_dwordx2 s[12:13], s[4:5], 0x38
	v_mul_lo_u16 v1, 0xa5, v1
	v_sub_nc_u16 v0, v0, v1
	v_and_b32_e32 v76, 0xffff, v0
	v_cmp_gt_u16_e32 vcc_lo, 0x78, v0
	v_lshlrev_b32_e32 v75, 3, v76
	s_and_saveexec_b32 s1, vcc_lo
	s_cbranch_execz .LBB0_3
; %bb.2:
	s_load_dwordx2 s[6:7], s[4:5], 0x18
	s_waitcnt lgkmcnt(0)
	v_add_co_u32 v18, s0, s14, v75
	v_add_co_ci_u32_e64 v19, null, s15, 0, s0
	v_add_nc_u32_e32 v46, 0x400, v75
	v_add_co_u32 v10, s0, 0x800, v18
	v_add_co_ci_u32_e64 v11, s0, 0, v19, s0
	v_add_nc_u32_e32 v47, 0xc00, v75
	v_add_nc_u32_e32 v48, 0x1400, v75
	;; [unrolled: 1-line block ×3, first 2 shown]
	s_load_dwordx4 s[8:11], s[6:7], 0x0
	s_clause 0x4
	global_load_dwordx2 v[4:5], v75, s[14:15]
	global_load_dwordx2 v[6:7], v75, s[14:15] offset:960
	global_load_dwordx2 v[8:9], v75, s[14:15] offset:1920
	global_load_dwordx2 v[20:21], v[10:11], off offset:832
	global_load_dwordx2 v[10:11], v[10:11], off offset:1792
	s_waitcnt lgkmcnt(0)
	v_mad_u64_u32 v[0:1], null, s10, v56, 0
	v_mad_u64_u32 v[2:3], null, s8, v76, 0
	s_mul_i32 s6, s9, 0x3c0
	s_mul_hi_u32 s7, s8, 0x3c0
	s_add_i32 s7, s7, s6
	v_mad_u64_u32 v[12:13], null, s11, v56, v[1:2]
	v_add_co_u32 v13, s0, 0x1000, v18
	v_add_co_ci_u32_e64 v14, s0, 0, v19, s0
	v_mov_b32_e32 v1, v12
	s_clause 0x1
	global_load_dwordx2 v[22:23], v[13:14], off offset:704
	global_load_dwordx2 v[12:13], v[13:14], off offset:1664
	v_lshlrev_b64 v[0:1], 3, v[0:1]
	s_waitcnt vmcnt(6)
	v_mad_u64_u32 v[15:16], null, s9, v76, v[3:4]
	v_add_co_u32 v16, s0, 0x1800, v18
	v_add_co_ci_u32_e64 v17, s0, 0, v19, s0
	v_add_co_u32 v18, s0, 0x2000, v18
	v_mov_b32_e32 v3, v15
	v_add_co_ci_u32_e64 v19, s0, 0, v19, s0
	v_add_co_u32 v0, s0, s2, v0
	v_lshlrev_b64 v[2:3], 3, v[2:3]
	v_add_co_ci_u32_e64 v1, s0, s3, v1, s0
	s_mul_i32 s2, s8, 0x3c0
	s_clause 0x1
	global_load_dwordx2 v[24:25], v[16:17], off offset:576
	global_load_dwordx2 v[16:17], v[16:17], off offset:1536
	v_add_co_u32 v0, s0, v0, v2
	v_add_co_ci_u32_e64 v1, s0, v1, v3, s0
	v_add_co_u32 v2, s0, v0, s2
	v_add_co_ci_u32_e64 v3, s0, s7, v1, s0
	;; [unrolled: 2-line block ×3, first 2 shown]
	s_clause 0x1
	global_load_dwordx2 v[0:1], v[0:1], off
	global_load_dwordx2 v[2:3], v[2:3], off
	v_add_co_u32 v26, s0, v14, s2
	v_add_co_ci_u32_e64 v27, s0, s7, v15, s0
	v_add_co_u32 v28, s0, v26, s2
	v_add_co_ci_u32_e64 v29, s0, s7, v27, s0
	s_clause 0x1
	global_load_dwordx2 v[14:15], v[14:15], off
	global_load_dwordx2 v[26:27], v[26:27], off
	v_add_co_u32 v30, s0, v28, s2
	v_add_co_ci_u32_e64 v31, s0, s7, v29, s0
	global_load_dwordx2 v[28:29], v[28:29], off
	v_add_co_u32 v32, s0, v30, s2
	v_add_co_ci_u32_e64 v33, s0, s7, v31, s0
	;; [unrolled: 3-line block ×6, first 2 shown]
	global_load_dwordx2 v[38:39], v[38:39], off
	s_clause 0x1
	global_load_dwordx2 v[42:43], v[18:19], off offset:448
	global_load_dwordx2 v[18:19], v[18:19], off offset:1408
	global_load_dwordx2 v[40:41], v[40:41], off
	s_waitcnt vmcnt(12)
	v_mul_f32_e32 v44, v1, v5
	v_mul_f32_e32 v45, v0, v5
	s_waitcnt vmcnt(11)
	v_mul_f32_e32 v5, v3, v7
	v_mul_f32_e32 v7, v2, v7
	v_fmac_f32_e32 v44, v0, v4
	v_fma_f32 v45, v1, v4, -v45
	v_fmac_f32_e32 v5, v2, v6
	v_fma_f32 v6, v3, v6, -v7
	s_waitcnt vmcnt(10)
	v_mul_f32_e32 v0, v15, v9
	v_mul_f32_e32 v1, v14, v9
	s_waitcnt vmcnt(9)
	v_mul_f32_e32 v2, v27, v21
	ds_write2_b64 v75, v[44:45], v[5:6] offset1:120
	v_mul_f32_e32 v3, v26, v21
	v_fmac_f32_e32 v0, v14, v8
	s_waitcnt vmcnt(8)
	v_mul_f32_e32 v4, v29, v11
	v_mul_f32_e32 v5, v28, v11
	v_fma_f32 v1, v15, v8, -v1
	v_fmac_f32_e32 v2, v26, v20
	v_fma_f32 v3, v27, v20, -v3
	s_waitcnt vmcnt(7)
	v_mul_f32_e32 v6, v31, v23
	v_mul_f32_e32 v7, v30, v23
	v_fmac_f32_e32 v4, v28, v10
	v_fma_f32 v5, v29, v10, -v5
	s_waitcnt vmcnt(6)
	v_mul_f32_e32 v8, v33, v13
	v_mul_f32_e32 v9, v32, v13
	;; [unrolled: 5-line block ×4, first 2 shown]
	v_fmac_f32_e32 v10, v34, v24
	s_waitcnt vmcnt(2)
	v_mul_f32_e32 v15, v39, v43
	v_mul_f32_e32 v20, v38, v43
	s_waitcnt vmcnt(0)
	v_mul_f32_e32 v17, v41, v19
	v_mul_f32_e32 v19, v40, v19
	v_fma_f32 v11, v35, v24, -v11
	v_fmac_f32_e32 v13, v36, v16
	v_fma_f32 v14, v37, v16, -v12
	v_fmac_f32_e32 v15, v38, v42
	;; [unrolled: 2-line block ×3, first 2 shown]
	v_fma_f32 v18, v41, v18, -v19
	ds_write2_b64 v46, v[0:1], v[2:3] offset0:112 offset1:232
	ds_write2_b64 v47, v[4:5], v[6:7] offset0:96 offset1:216
	;; [unrolled: 1-line block ×4, first 2 shown]
	ds_write_b64 v75, v[17:18] offset:9600
.LBB0_3:
	s_or_b32 exec_lo, exec_lo, s1
	s_clause 0x1
	s_load_dwordx2 s[0:1], s[4:5], 0x20
	s_load_dwordx2 s[2:3], s[4:5], 0x8
	v_mov_b32_e32 v4, 0
	v_mov_b32_e32 v5, 0
	s_waitcnt lgkmcnt(0)
	s_barrier
	buffer_gl0_inv
                                        ; implicit-def: $vgpr10
                                        ; implicit-def: $vgpr0
                                        ; implicit-def: $vgpr22
                                        ; implicit-def: $vgpr14
                                        ; implicit-def: $vgpr18
	s_and_saveexec_b32 s4, vcc_lo
	s_cbranch_execz .LBB0_5
; %bb.4:
	v_add_nc_u32_e32 v0, 0x400, v75
	v_add_nc_u32_e32 v1, 0xc00, v75
	;; [unrolled: 1-line block ×4, first 2 shown]
	ds_read2_b64 v[4:7], v75 offset1:120
	ds_read2_b64 v[16:19], v0 offset0:112 offset1:232
	ds_read2_b64 v[12:15], v1 offset0:96 offset1:216
	;; [unrolled: 1-line block ×4, first 2 shown]
	ds_read_b64 v[22:23], v75 offset:9600
.LBB0_5:
	s_or_b32 exec_lo, exec_lo, s4
	s_waitcnt lgkmcnt(0)
	v_sub_f32_e32 v47, v7, v23
	v_sub_f32_e32 v48, v6, v22
	v_add_f32_e32 v24, v22, v6
	v_sub_f32_e32 v49, v17, v3
	v_add_f32_e32 v26, v23, v7
	v_mul_f32_e32 v33, 0xbf0a6770, v47
	v_mul_f32_e32 v36, 0xbf0a6770, v48
	v_add_f32_e32 v25, v2, v16
	v_sub_f32_e32 v50, v16, v2
	v_mul_f32_e32 v35, 0xbf68dda4, v49
	v_fmamk_f32 v20, v24, 0x3f575c64, v33
	v_sub_f32_e32 v55, v19, v1
	v_fma_f32 v21, 0x3f575c64, v26, -v36
	v_add_f32_e32 v27, v3, v17
	v_mul_f32_e32 v38, 0xbf68dda4, v50
	v_add_f32_e32 v20, v20, v4
	v_fmamk_f32 v30, v25, 0x3ed4b147, v35
	v_sub_f32_e32 v59, v18, v0
	v_add_f32_e32 v28, v0, v18
	v_mul_f32_e32 v40, 0xbf7d64f0, v55
	v_sub_f32_e32 v64, v13, v11
	v_add_f32_e32 v21, v21, v5
	v_fma_f32 v31, 0x3ed4b147, v27, -v38
	v_add_f32_e32 v29, v1, v19
	v_mul_f32_e32 v41, 0xbf7d64f0, v59
	v_add_f32_e32 v20, v30, v20
	v_fmamk_f32 v30, v28, 0xbe11bafb, v40
	v_sub_f32_e32 v65, v12, v10
	v_add_f32_e32 v32, v10, v12
	v_mul_f32_e32 v42, 0xbf4178ce, v64
	v_mul_f32_e32 v44, 0xbf68dda4, v47
	v_add_f32_e32 v21, v31, v21
	v_fma_f32 v31, 0xbe11bafb, v29, -v41
	v_add_f32_e32 v20, v30, v20
	v_add_f32_e32 v34, v11, v13
	v_mul_f32_e32 v43, 0xbf4178ce, v65
	v_fmamk_f32 v30, v32, 0xbf27a4f4, v42
	v_mul_f32_e32 v62, 0xbf68dda4, v48
	v_add_f32_e32 v21, v31, v21
	v_fmamk_f32 v52, v24, 0x3ed4b147, v44
	v_fma_f32 v31, 0xbf27a4f4, v34, -v43
	v_add_f32_e32 v20, v30, v20
	v_mul_f32_e32 v51, 0xbf4178ce, v49
	v_fma_f32 v30, 0x3ed4b147, v26, -v62
	v_mul_f32_e32 v63, 0xbf4178ce, v50
	v_sub_f32_e32 v66, v15, v9
	v_add_f32_e32 v21, v31, v21
	v_add_f32_e32 v31, v52, v4
	v_fmamk_f32 v53, v25, 0xbf27a4f4, v51
	v_add_f32_e32 v30, v30, v5
	v_fma_f32 v54, 0xbf27a4f4, v27, -v63
	v_mul_f32_e32 v52, 0x3e903f40, v55
	v_mul_f32_e32 v60, 0x3e903f40, v59
	v_add_f32_e32 v37, v8, v14
	v_mul_f32_e32 v45, 0xbe903f40, v66
	v_add_f32_e32 v31, v53, v31
	v_add_f32_e32 v30, v54, v30
	v_fmamk_f32 v54, v28, 0xbf75a155, v52
	v_fma_f32 v58, 0xbf75a155, v29, -v60
	v_mul_f32_e32 v53, 0x3f7d64f0, v64
	v_mul_f32_e32 v61, 0x3f7d64f0, v65
	v_fmamk_f32 v57, v37, 0xbf75a155, v45
	v_add_f32_e32 v31, v54, v31
	v_add_f32_e32 v30, v58, v30
	v_fmamk_f32 v54, v32, 0xbe11bafb, v53
	v_fma_f32 v58, 0xbe11bafb, v34, -v61
	v_mul_f32_e32 v71, 0xbf7d64f0, v47
	v_mul_f32_e32 v77, 0xbf7d64f0, v48
	v_add_f32_e32 v57, v57, v20
	v_add_f32_e32 v20, v54, v31
	v_add_f32_e32 v31, v58, v30
	v_fmamk_f32 v30, v24, 0xbe11bafb, v71
	v_mul_f32_e32 v73, 0x3e903f40, v49
	v_fma_f32 v58, 0xbe11bafb, v26, -v77
	v_mul_f32_e32 v80, 0x3e903f40, v50
	v_mul_f32_e32 v70, 0x3f68dda4, v55
	v_add_f32_e32 v30, v30, v4
	v_fmamk_f32 v68, v25, 0xbf75a155, v73
	v_add_f32_e32 v58, v58, v5
	v_fma_f32 v69, 0xbf75a155, v27, -v80
	v_mul_f32_e32 v81, 0x3f68dda4, v59
	v_sub_f32_e32 v67, v14, v8
	v_add_f32_e32 v30, v68, v30
	v_mul_f32_e32 v72, 0xbf0a6770, v64
	v_add_f32_e32 v58, v69, v58
	v_fmamk_f32 v69, v28, 0x3ed4b147, v70
	v_fma_f32 v79, 0x3ed4b147, v29, -v81
	v_mul_f32_e32 v74, 0xbf0a6770, v65
	v_add_f32_e32 v39, v9, v15
	v_mul_f32_e32 v46, 0xbe903f40, v67
	v_mul_f32_e32 v54, 0x3f0a6770, v66
	;; [unrolled: 1-line block ×3, first 2 shown]
	v_add_f32_e32 v30, v69, v30
	v_add_f32_e32 v58, v79, v58
	v_fmamk_f32 v83, v32, 0x3f575c64, v72
	v_fma_f32 v84, 0x3f575c64, v34, -v74
	v_mul_f32_e32 v69, 0xbf4178ce, v66
	v_mul_f32_e32 v79, 0xbf4178ce, v67
	v_fma_f32 v78, 0xbf75a155, v39, -v46
	v_fmamk_f32 v82, v37, 0x3f575c64, v54
	v_fma_f32 v85, 0x3f575c64, v39, -v68
	v_add_f32_e32 v83, v83, v30
	v_add_f32_e32 v84, v84, v58
	v_fmamk_f32 v86, v37, 0xbf27a4f4, v69
	v_fma_f32 v87, 0xbf27a4f4, v39, -v79
	v_add_f32_e32 v58, v78, v21
	v_add_f32_e32 v30, v82, v20
	;; [unrolled: 1-line block ×5, first 2 shown]
	v_mul_lo_u16 v78, v76, 11
	s_barrier
	buffer_gl0_inv
	s_and_saveexec_b32 s4, vcc_lo
	s_cbranch_execz .LBB0_7
; %bb.6:
	v_mul_f32_e32 v82, 0xbf75a155, v26
	v_mul_f32_e32 v83, 0xbe903f40, v47
	v_mul_f32_e32 v85, 0x3f575c64, v27
	v_mul_f32_e32 v88, 0x3f0a6770, v49
	v_mul_f32_e32 v89, 0xbf4178ce, v55
	v_fmamk_f32 v87, v48, 0x3e903f40, v82
	v_fmamk_f32 v90, v24, 0xbf75a155, v83
	;; [unrolled: 1-line block ×4, first 2 shown]
	v_mul_f32_e32 v86, 0xbf27a4f4, v29
	v_add_f32_e32 v87, v87, v5
	v_add_f32_e32 v90, v90, v4
	v_fmamk_f32 v95, v28, 0xbf27a4f4, v89
	v_fmac_f32_e32 v82, 0xbe903f40, v48
	v_mul_f32_e32 v92, 0x3ed4b147, v34
	v_add_f32_e32 v87, v91, v87
	v_mul_f32_e32 v91, 0x3f68dda4, v64
	v_add_f32_e32 v90, v93, v90
	v_fmamk_f32 v94, v59, 0x3f4178ce, v86
	v_fma_f32 v83, 0xbf75a155, v24, -v83
	v_add_f32_e32 v82, v82, v5
	v_fmamk_f32 v93, v32, 0x3ed4b147, v91
	v_add_f32_e32 v90, v95, v90
	v_fmac_f32_e32 v85, 0x3f0a6770, v50
	v_fmamk_f32 v96, v65, 0xbf68dda4, v92
	v_add_f32_e32 v87, v94, v87
	v_add_f32_e32 v83, v83, v4
	;; [unrolled: 1-line block ×3, first 2 shown]
	v_fma_f32 v88, 0x3f575c64, v25, -v88
	v_mul_f32_e32 v93, 0xbe11bafb, v39
	v_add_f32_e32 v82, v85, v82
	v_fmac_f32_e32 v86, 0xbf4178ce, v59
	v_add_f32_e32 v87, v96, v87
	v_mul_f32_e32 v85, 0xbf7d64f0, v66
	v_add_f32_e32 v83, v88, v83
	v_fma_f32 v88, 0xbf27a4f4, v28, -v89
	v_fmamk_f32 v89, v67, 0x3f7d64f0, v93
	v_add_f32_e32 v86, v86, v82
	v_fmac_f32_e32 v92, 0x3f68dda4, v65
	v_fmamk_f32 v82, v37, 0xbe11bafb, v85
	v_add_f32_e32 v88, v88, v83
	v_add_f32_e32 v83, v89, v87
	v_fma_f32 v87, 0x3ed4b147, v32, -v91
	v_add_f32_e32 v86, v92, v86
	v_fmac_f32_e32 v93, 0xbf7d64f0, v67
	v_mul_f32_e32 v89, 0xbf4178ce, v48
	v_add_f32_e32 v82, v82, v90
	v_add_f32_e32 v87, v87, v88
	v_fma_f32 v85, 0xbe11bafb, v37, -v85
	v_mul_f32_e32 v88, 0xbf4178ce, v47
	v_add_f32_e32 v48, v93, v86
	v_fmamk_f32 v86, v26, 0xbf27a4f4, v89
	v_mul_f32_e32 v90, 0x3f7d64f0, v50
	v_add_f32_e32 v47, v85, v87
	v_fma_f32 v50, 0xbf27a4f4, v24, -v88
	v_mul_f32_e32 v85, 0x3f7d64f0, v49
	v_add_f32_e32 v49, v86, v5
	v_fmamk_f32 v86, v27, 0xbe11bafb, v90
	v_mul_f32_e32 v59, 0xbf0a6770, v59
	;; [unrolled: 6-line block ×3, first 2 shown]
	v_add_f32_e32 v50, v87, v50
	v_fma_f32 v87, 0x3f575c64, v28, -v55
	v_mul_f32_e32 v65, 0xbe903f40, v65
	v_add_f32_e32 v49, v86, v49
	v_mul_f32_e32 v86, 0xbf75a155, v27
	v_add_f32_e32 v77, v77, v92
	v_add_f32_e32 v50, v87, v50
	v_mul_f32_e32 v87, 0x3ed4b147, v29
	v_mul_f32_e32 v95, 0x3ed4b147, v24
	v_add_f32_e32 v80, v80, v86
	v_add_f32_e32 v77, v77, v5
	v_mul_f32_e32 v91, 0x3ed4b147, v26
	v_add_f32_e32 v81, v81, v87
	v_mul_f32_e32 v64, 0xbe903f40, v64
	v_fmamk_f32 v92, v34, 0xbf75a155, v65
	v_add_f32_e32 v77, v80, v77
	v_mul_f32_e32 v67, 0x3f68dda4, v67
	v_mul_f32_e32 v80, 0xbe11bafb, v24
	v_fma_f32 v86, 0xbf75a155, v32, -v64
	v_add_f32_e32 v49, v92, v49
	v_add_f32_e32 v77, v81, v77
	v_mul_f32_e32 v81, 0xbf75a155, v25
	v_fmamk_f32 v92, v39, 0x3ed4b147, v67
	v_sub_f32_e32 v71, v80, v71
	v_mul_f32_e32 v80, 0xbf27a4f4, v25
	v_add_f32_e32 v62, v62, v91
	v_sub_f32_e32 v73, v81, v73
	v_mul_f32_e32 v81, 0xbf27a4f4, v27
	v_sub_f32_e32 v44, v95, v44
	v_mul_f32_e32 v66, 0x3f68dda4, v66
	v_add_f32_e32 v86, v86, v50
	v_add_f32_e32 v50, v92, v49
	v_mul_f32_e32 v92, 0x3f575c64, v34
	v_mul_f32_e32 v91, 0xbf75a155, v28
	v_add_f32_e32 v63, v63, v81
	v_add_f32_e32 v62, v62, v5
	v_sub_f32_e32 v51, v80, v51
	v_add_f32_e32 v44, v44, v4
	v_mul_f32_e32 v94, 0x3f575c64, v26
	v_fma_f32 v93, 0x3ed4b147, v37, -v66
	v_add_f32_e32 v74, v74, v92
	v_mul_f32_e32 v92, 0xbf27a4f4, v39
	v_add_f32_e32 v62, v63, v62
	v_mul_f32_e32 v63, 0xbe11bafb, v32
	v_add_f32_e32 v44, v51, v44
	v_sub_f32_e32 v52, v91, v52
	v_add_f32_e32 v7, v7, v5
	v_add_f32_e32 v49, v93, v86
	v_mul_f32_e32 v86, 0x3ed4b147, v27
	v_add_f32_e32 v71, v71, v4
	v_add_f32_e32 v79, v79, v92
	v_mul_f32_e32 v92, 0x3ed4b147, v28
	v_add_f32_e32 v44, v52, v44
	v_sub_f32_e32 v53, v63, v53
	v_add_f32_e32 v63, v36, v94
	v_add_f32_e32 v7, v17, v7
	;; [unrolled: 1-line block ×3, first 2 shown]
	v_mul_f32_e32 v73, 0xbe11bafb, v29
	v_sub_f32_e32 v70, v92, v70
	v_mul_f32_e32 v92, 0x3f575c64, v32
	v_add_f32_e32 v44, v53, v44
	v_add_f32_e32 v53, v63, v5
	;; [unrolled: 1-line block ×5, first 2 shown]
	v_sub_f32_e32 v72, v92, v72
	v_mul_f32_e32 v92, 0xbf27a4f4, v34
	v_add_f32_e32 v17, v38, v53
	v_add_f32_e32 v38, v41, v73
	;; [unrolled: 1-line block ×4, first 2 shown]
	v_mul_f32_e32 v80, 0xbf75a155, v39
	v_mul_f32_e32 v84, 0x3f575c64, v24
	v_add_f32_e32 v16, v38, v17
	v_add_f32_e32 v17, v43, v92
	;; [unrolled: 1-line block ×5, first 2 shown]
	v_mul_f32_e32 v87, 0x3ed4b147, v25
	v_add_f32_e32 v16, v17, v16
	v_add_f32_e32 v6, v12, v6
	;; [unrolled: 1-line block ×3, first 2 shown]
	v_sub_f32_e32 v33, v84, v33
	v_fmac_f32_e32 v88, 0xbf27a4f4, v24
	v_add_f32_e32 v7, v15, v16
	v_add_f32_e32 v14, v14, v6
	v_fma_f32 v15, 0xbf27a4f4, v26, -v89
	v_add_f32_e32 v9, v11, v9
	v_add_f32_e32 v74, v74, v77
	v_mul_f32_e32 v77, 0xbe11bafb, v28
	v_add_f32_e32 v33, v33, v4
	v_sub_f32_e32 v35, v87, v35
	v_add_f32_e32 v8, v8, v14
	v_add_f32_e32 v5, v15, v5
	v_fma_f32 v11, 0xbe11bafb, v27, -v90
	v_mul_f32_e32 v81, 0xbf75a155, v29
	v_add_f32_e32 v1, v1, v9
	v_add_f32_e32 v4, v88, v4
	v_fmac_f32_e32 v85, 0xbe11bafb, v25
	v_add_f32_e32 v70, v70, v71
	v_mul_f32_e32 v71, 0xbf27a4f4, v32
	v_add_f32_e32 v33, v35, v33
	v_sub_f32_e32 v19, v77, v40
	v_add_f32_e32 v8, v10, v8
	v_add_f32_e32 v5, v11, v5
	v_fma_f32 v9, 0x3f575c64, v29, -v59
	v_mul_f32_e32 v93, 0xbe11bafb, v34
	v_add_f32_e32 v60, v60, v81
	v_add_f32_e32 v1, v3, v1
	;; [unrolled: 1-line block ×3, first 2 shown]
	v_fmac_f32_e32 v55, 0x3f575c64, v28
	v_mul_f32_e32 v81, 0xbf75a155, v37
	v_add_f32_e32 v13, v19, v33
	v_sub_f32_e32 v18, v71, v42
	v_add_f32_e32 v0, v0, v8
	v_add_f32_e32 v4, v9, v5
	v_fma_f32 v5, 0xbf75a155, v34, -v65
	v_add_f32_e32 v60, v60, v62
	v_mul_f32_e32 v62, 0x3f575c64, v37
	v_add_f32_e32 v61, v61, v93
	v_mul_f32_e32 v93, 0xbf27a4f4, v37
	v_mul_f32_e32 v51, 0x3f575c64, v39
	v_add_f32_e32 v3, v55, v3
	v_fmac_f32_e32 v64, 0xbf75a155, v32
	v_add_f32_e32 v12, v18, v13
	v_sub_f32_e32 v13, v81, v45
	v_add_f32_e32 v0, v2, v0
	v_add_f32_e32 v2, v5, v4
	v_mov_b32_e32 v4, 3
	v_add_f32_e32 v70, v72, v70
	v_sub_f32_e32 v69, v93, v69
	v_add_f32_e32 v60, v61, v60
	v_add_f32_e32 v61, v68, v51
	v_sub_f32_e32 v54, v62, v54
	v_fma_f32 v5, 0x3ed4b147, v39, -v67
	v_add_f32_e32 v8, v64, v3
	v_fmac_f32_e32 v66, 0x3ed4b147, v37
	v_add_f32_e32 v6, v13, v12
	v_add_f32_e32 v1, v23, v1
	v_add_f32_e32 v0, v22, v0
	v_lshlrev_b32_sdwa v4, v4, v78 dst_sel:DWORD dst_unused:UNUSED_PAD src0_sel:DWORD src1_sel:WORD_0
	v_add_f32_e32 v52, v79, v74
	v_add_f32_e32 v51, v69, v70
	;; [unrolled: 1-line block ×6, first 2 shown]
	ds_write2_b64 v4, v[0:1], v[6:7] offset1:1
	ds_write2_b64 v4, v[35:36], v[51:52] offset0:2 offset1:3
	ds_write2_b64 v4, v[49:50], v[47:48] offset0:4 offset1:5
	;; [unrolled: 1-line block ×4, first 2 shown]
	ds_write_b64 v4, v[57:58] offset:80
.LBB0_7:
	s_or_b32 exec_lo, exec_lo, s4
	v_and_b32_e32 v0, 0xff, v76
	v_add_nc_u16 v24, v76, 0xa5
	v_add_nc_u16 v25, v76, 0x14a
	v_mov_b32_e32 v34, 3
	s_load_dwordx4 s[4:7], s[0:1], 0x0
	v_mul_lo_u16 v0, 0x75, v0
	s_waitcnt lgkmcnt(0)
	s_barrier
	buffer_gl0_inv
	v_lshlrev_b32_sdwa v77, v34, v76 dst_sel:DWORD dst_unused:UNUSED_PAD src0_sel:DWORD src1_sel:WORD_0
	v_lshrrev_b16 v0, 8, v0
	v_mov_b32_e32 v26, 22
	v_cmp_gt_u16_e64 s0, 0x6e, v76
	v_add_nc_u32_e32 v4, 0x1e00, v77
	v_sub_nc_u16 v1, v76, v0
	v_add_nc_u32_e32 v27, 0x800, v77
	v_add_nc_u32_e32 v35, 0xc00, v77
	;; [unrolled: 1-line block ×3, first 2 shown]
	v_lshrrev_b16 v1, 1, v1
	v_and_b32_e32 v1, 0x7f, v1
	v_add_nc_u16 v0, v1, v0
	v_mov_b32_e32 v1, 0xba2f
	v_lshrrev_b16 v14, 3, v0
	v_add_co_u32 v0, null, 0x1ef, v76
	v_mul_u32_u24_sdwa v8, v24, v1 dst_sel:DWORD dst_unused:UNUSED_PAD src0_sel:WORD_0 src1_sel:DWORD
	v_mul_u32_u24_sdwa v9, v25, v1 dst_sel:DWORD dst_unused:UNUSED_PAD src0_sel:WORD_0 src1_sel:DWORD
	v_mul_lo_u16 v2, v14, 11
	v_mul_u32_u24_sdwa v1, v0, v1 dst_sel:DWORD dst_unused:UNUSED_PAD src0_sel:WORD_0 src1_sel:DWORD
	v_mul_u32_u24_sdwa v26, v14, v26 dst_sel:DWORD dst_unused:UNUSED_PAD src0_sel:WORD_0 src1_sel:DWORD
	v_lshrrev_b32_e32 v15, 19, v8
	v_lshrrev_b32_e32 v16, 19, v9
	v_sub_nc_u16 v2, v76, v2
	v_lshrrev_b32_e32 v17, 19, v1
	v_mul_lo_u16 v1, v15, 11
	v_mul_lo_u16 v3, v16, 11
	v_and_b32_e32 v18, 0xff, v2
	v_mul_lo_u16 v2, v17, 11
	v_sub_nc_u16 v19, v24, v1
	v_sub_nc_u16 v22, v25, v3
	v_lshlrev_b32_e32 v1, 3, v18
	v_sub_nc_u16 v23, v0, v2
	v_add_lshl_u32 v84, v26, v18, 3
	v_lshlrev_b32_sdwa v0, v34, v19 dst_sel:DWORD dst_unused:UNUSED_PAD src0_sel:DWORD src1_sel:WORD_0
	v_lshlrev_b32_sdwa v2, v34, v22 dst_sel:DWORD dst_unused:UNUSED_PAD src0_sel:DWORD src1_sel:WORD_0
	global_load_dwordx2 v[63:64], v1, s[2:3]
	v_lshlrev_b32_sdwa v1, v34, v23 dst_sel:DWORD dst_unused:UNUSED_PAD src0_sel:DWORD src1_sel:WORD_0
	v_mad_u16 v19, v15, 22, v19
	s_clause 0x2
	global_load_dwordx2 v[65:66], v0, s[2:3]
	global_load_dwordx2 v[61:62], v2, s[2:3]
	;; [unrolled: 1-line block ×3, first 2 shown]
	v_add_nc_u32_e32 v0, 0x1400, v77
	v_mad_u16 v22, v16, 22, v22
	v_mad_u16 v23, v17, 22, v23
	v_lshlrev_b32_sdwa v83, v34, v19 dst_sel:DWORD dst_unused:UNUSED_PAD src0_sel:DWORD src1_sel:WORD_0
	ds_read2_b64 v[0:3], v0 offset0:20 offset1:185
	ds_read2_b64 v[4:7], v4 offset0:30 offset1:195
	ds_read2_b64 v[10:13], v77 offset1:165
	ds_read2_b64 v[14:17], v27 offset0:74 offset1:239
	v_lshlrev_b32_sdwa v82, v34, v22 dst_sel:DWORD dst_unused:UNUSED_PAD src0_sel:DWORD src1_sel:WORD_0
	v_lshlrev_b32_sdwa v81, v34, v23 dst_sel:DWORD dst_unused:UNUSED_PAD src0_sel:DWORD src1_sel:WORD_0
	s_waitcnt vmcnt(0) lgkmcnt(0)
	s_barrier
	buffer_gl0_inv
	v_mul_f32_e32 v18, v1, v64
	v_mul_f32_e32 v19, v0, v64
	;; [unrolled: 1-line block ×8, first 2 shown]
	v_fma_f32 v0, v0, v63, -v18
	v_fmac_f32_e32 v19, v1, v63
	v_fma_f32 v2, v2, v65, -v22
	v_fmac_f32_e32 v23, v3, v65
	;; [unrolled: 2-line block ×4, first 2 shown]
	v_sub_f32_e32 v0, v10, v0
	v_sub_f32_e32 v1, v11, v19
	;; [unrolled: 1-line block ×8, first 2 shown]
	v_fma_f32 v6, v10, 2.0, -v0
	v_fma_f32 v7, v11, 2.0, -v1
	;; [unrolled: 1-line block ×8, first 2 shown]
	ds_write2_b64 v84, v[6:7], v[0:1] offset1:11
	ds_write2_b64 v83, v[10:11], v[2:3] offset1:11
	;; [unrolled: 1-line block ×4, first 2 shown]
	s_waitcnt lgkmcnt(0)
	s_barrier
	buffer_gl0_inv
	ds_read2_b64 v[26:29], v77 offset1:165
	ds_read2_b64 v[4:7], v35 offset0:56 offset1:221
	ds_read2_b64 v[0:3], v36 offset0:48 offset1:213
	s_and_saveexec_b32 s1, s0
	s_cbranch_execz .LBB0_9
; %bb.8:
	ds_read_b64 v[32:33], v77 offset:2640
	ds_read_b64 v[22:23], v77 offset:6160
	;; [unrolled: 1-line block ×3, first 2 shown]
.LBB0_9:
	s_or_b32 exec_lo, exec_lo, s1
	v_lshrrev_b16 v10, 1, v76
	v_lshrrev_b32_e32 v79, 20, v9
	v_lshrrev_b32_e32 v35, 20, v8
	v_mov_b32_e32 v39, 0x42
	v_and_b32_e32 v9, 0x7f, v10
	v_mul_lo_u16 v10, v79, 22
	v_mul_lo_u16 v9, 0xbb, v9
	v_sub_nc_u16 v80, v25, v10
	v_lshrrev_b16 v36, 11, v9
	v_mul_lo_u16 v9, v35, 22
	v_lshlrev_b16 v8, 4, v80
	v_mul_lo_u16 v10, v36, 22
	v_sub_nc_u16 v37, v24, v9
	v_and_b32_e32 v8, 0xffff, v8
	v_mul_u32_u24_sdwa v36, v36, v39 dst_sel:DWORD dst_unused:UNUSED_PAD src0_sel:WORD_0 src1_sel:DWORD
	v_sub_nc_u16 v10, v76, v10
	v_lshlrev_b16 v12, 4, v37
	v_add_co_u32 v8, s1, s2, v8
	v_add_co_ci_u32_e64 v9, null, s3, 0, s1
	v_and_b32_e32 v12, 0xffff, v12
	v_and_b32_e32 v38, 0xff, v10
	v_mad_u16 v35, 0x42, v35, v37
	global_load_dwordx4 v[8:11], v[8:9], off offset:88
	v_add_co_u32 v12, s1, s2, v12
	v_lshlrev_b32_e32 v14, 4, v38
	v_add_co_ci_u32_e64 v13, null, s3, 0, s1
	s_clause 0x1
	global_load_dwordx4 v[16:19], v14, s[2:3] offset:88
	global_load_dwordx4 v[12:15], v[12:13], off offset:88
	v_lshlrev_b32_sdwa v85, v34, v35 dst_sel:DWORD dst_unused:UNUSED_PAD src0_sel:DWORD src1_sel:WORD_0
	v_add_lshl_u32 v86, v36, v38, 3
	s_waitcnt vmcnt(0) lgkmcnt(0)
	s_barrier
	buffer_gl0_inv
	v_mul_f32_e32 v34, v23, v9
	v_mul_f32_e32 v35, v22, v9
	;; [unrolled: 1-line block ×4, first 2 shown]
	v_fma_f32 v22, v22, v8, -v34
	v_fmac_f32_e32 v35, v23, v8
	v_fma_f32 v20, v20, v10, -v36
	v_fmac_f32_e32 v37, v21, v10
	v_mul_f32_e32 v21, v5, v17
	v_mul_f32_e32 v23, v4, v17
	;; [unrolled: 1-line block ×8, first 2 shown]
	v_add_f32_e32 v42, v32, v22
	v_fma_f32 v4, v4, v16, -v21
	v_fmac_f32_e32 v23, v5, v16
	v_fma_f32 v0, v0, v18, -v34
	v_fmac_f32_e32 v40, v1, v18
	;; [unrolled: 2-line block ×4, first 2 shown]
	v_add_f32_e32 v43, v22, v20
	v_sub_f32_e32 v44, v35, v37
	v_add_f32_e32 v45, v33, v35
	v_add_f32_e32 v35, v35, v37
	v_sub_f32_e32 v22, v22, v20
	v_add_f32_e32 v36, v42, v20
	v_add_f32_e32 v2, v26, v4
	;; [unrolled: 1-line block ×3, first 2 shown]
	v_sub_f32_e32 v7, v23, v40
	v_add_f32_e32 v6, v27, v23
	v_add_f32_e32 v20, v23, v40
	;; [unrolled: 1-line block ×4, first 2 shown]
	v_fmac_f32_e32 v32, -0.5, v43
	v_fmac_f32_e32 v33, -0.5, v35
	v_sub_f32_e32 v21, v4, v0
	v_add_f32_e32 v4, v28, v1
	v_sub_f32_e32 v34, v38, v41
	v_add_f32_e32 v35, v29, v38
	;; [unrolled: 2-line block ×3, first 2 shown]
	v_fma_f32 v2, -0.5, v3, v26
	v_fma_f32 v3, -0.5, v20, v27
	;; [unrolled: 1-line block ×3, first 2 shown]
	v_fmac_f32_e32 v29, -0.5, v42
	v_add_f32_e32 v37, v45, v37
	v_fmamk_f32 v38, v44, 0x3f5db3d7, v32
	v_fmac_f32_e32 v32, 0xbf5db3d7, v44
	v_fmamk_f32 v39, v22, 0xbf5db3d7, v33
	v_add_f32_e32 v1, v6, v40
	v_fmamk_f32 v6, v7, 0x3f5db3d7, v2
	v_fmac_f32_e32 v2, 0xbf5db3d7, v7
	v_fmamk_f32 v7, v21, 0xbf5db3d7, v3
	v_fmac_f32_e32 v3, 0x3f5db3d7, v21
	;; [unrolled: 2-line block ×4, first 2 shown]
	v_fmac_f32_e32 v33, 0x3f5db3d7, v22
	v_add_f32_e32 v4, v4, v5
	v_add_f32_e32 v5, v35, v41
	ds_write2_b64 v86, v[0:1], v[6:7] offset1:22
	ds_write_b64 v86, v[2:3] offset:352
	ds_write2_b64 v85, v[4:5], v[20:21] offset1:22
	ds_write_b64 v85, v[28:29] offset:352
	s_and_saveexec_b32 s1, s0
	s_cbranch_execz .LBB0_11
; %bb.10:
	v_mov_b32_e32 v0, 0xba2f
	v_mov_b32_e32 v1, 3
	v_mul_u32_u24_sdwa v0, v25, v0 dst_sel:DWORD dst_unused:UNUSED_PAD src0_sel:WORD_0 src1_sel:DWORD
	v_lshrrev_b32_e32 v0, 20, v0
	v_mad_u16 v0, 0x42, v0, v80
	v_lshlrev_b32_sdwa v0, v1, v0 dst_sel:DWORD dst_unused:UNUSED_PAD src0_sel:DWORD src1_sel:WORD_0
	ds_write2_b64 v0, v[36:37], v[38:39] offset1:22
	ds_write_b64 v0, v[32:33] offset:352
.LBB0_11:
	s_or_b32 exec_lo, exec_lo, s1
	s_waitcnt lgkmcnt(0)
	s_barrier
	buffer_gl0_inv
	ds_read_b64 v[34:35], v77
	ds_read_b64 v[46:47], v77 offset:2112
	ds_read_b64 v[44:45], v77 offset:4224
	;; [unrolled: 1-line block ×4, first 2 shown]
	v_cmp_gt_u16_e64 s1, 0x63, v76
	s_and_saveexec_b32 s8, s1
	s_cbranch_execz .LBB0_13
; %bb.12:
	ds_read_b64 v[28:29], v77 offset:1320
	ds_read_b64 v[36:37], v77 offset:3432
	;; [unrolled: 1-line block ×5, first 2 shown]
.LBB0_13:
	s_or_b32 exec_lo, exec_lo, s8
	v_and_b32_e32 v0, 0xff, v76
	v_mov_b32_e32 v1, 0xf83f
	v_mov_b32_e32 v50, 0x14a
	v_mul_lo_u16 v0, 0xf9, v0
	v_lshrrev_b16 v48, 14, v0
	v_mul_u32_u24_sdwa v0, v24, v1 dst_sel:DWORD dst_unused:UNUSED_PAD src0_sel:WORD_0 src1_sel:DWORD
	v_mul_lo_u16 v1, 0x42, v48
	v_lshrrev_b32_e32 v87, 22, v0
	v_mul_u32_u24_sdwa v48, v48, v50 dst_sel:DWORD dst_unused:UNUSED_PAD src0_sel:WORD_0 src1_sel:DWORD
	v_sub_nc_u16 v0, v76, v1
	v_mul_lo_u16 v1, 0x42, v87
	v_and_b32_e32 v49, 0xff, v0
	v_sub_nc_u16 v89, v24, v1
	v_lshlrev_b32_e32 v0, 5, v49
	v_lshlrev_b16 v1, 5, v89
	v_add_lshl_u32 v88, v48, v49, 3
	v_mad_u16 v87, 0x14a, v87, v89
	s_clause 0x1
	global_load_dwordx4 v[24:27], v0, s[2:3] offset:440
	global_load_dwordx4 v[20:23], v0, s[2:3] offset:456
	v_and_b32_e32 v0, 0xffff, v1
	v_add_co_u32 v0, s8, s2, v0
	v_add_co_ci_u32_e64 v1, null, s3, 0, s8
	s_clause 0x1
	global_load_dwordx4 v[4:7], v[0:1], off offset:440
	global_load_dwordx4 v[0:3], v[0:1], off offset:456
	s_waitcnt vmcnt(0) lgkmcnt(0)
	s_barrier
	buffer_gl0_inv
	v_mul_f32_e32 v48, v47, v25
	v_mul_f32_e32 v49, v46, v25
	;; [unrolled: 1-line block ×8, first 2 shown]
	v_fma_f32 v46, v46, v24, -v48
	v_fmac_f32_e32 v49, v47, v24
	v_fma_f32 v47, v44, v26, -v50
	v_fma_f32 v48, v42, v20, -v52
	v_fmac_f32_e32 v53, v43, v20
	v_fma_f32 v73, v40, v22, -v54
	v_fmac_f32_e32 v74, v41, v22
	v_mul_f32_e32 v44, v37, v5
	v_mul_f32_e32 v43, v36, v5
	;; [unrolled: 1-line block ×8, first 2 shown]
	v_fmac_f32_e32 v51, v45, v26
	v_fma_f32 v45, v36, v4, -v44
	v_fmac_f32_e32 v43, v37, v4
	v_fma_f32 v44, v38, v6, -v50
	;; [unrolled: 2-line block ×4, first 2 shown]
	v_fmac_f32_e32 v40, v31, v2
	v_add_f32_e32 v31, v34, v46
	v_add_f32_e32 v33, v47, v48
	v_sub_f32_e32 v38, v46, v47
	v_sub_f32_e32 v39, v73, v48
	v_add_f32_e32 v50, v46, v73
	v_sub_f32_e32 v52, v47, v46
	v_sub_f32_e32 v54, v48, v73
	;; [unrolled: 3-line block ×4, first 2 shown]
	v_sub_f32_e32 v69, v74, v53
	v_add_f32_e32 v70, v49, v74
	v_sub_f32_e32 v49, v51, v49
	v_sub_f32_e32 v71, v53, v74
	v_add_f32_e32 v31, v31, v47
	v_fma_f32 v67, -0.5, v33, v34
	v_add_f32_e32 v92, v38, v39
	v_fma_f32 v34, -0.5, v50, v34
	v_add_f32_e32 v93, v52, v54
	v_add_f32_e32 v38, v55, v51
	v_add_f32_e32 v39, v44, v32
	v_sub_f32_e32 v50, v45, v44
	v_sub_f32_e32 v52, v30, v32
	v_add_f32_e32 v54, v45, v30
	v_add_f32_e32 v98, v42, v41
	;; [unrolled: 1-line block ×3, first 2 shown]
	v_sub_f32_e32 v91, v47, v48
	v_fma_f32 v68, -0.5, v68, v35
	v_add_f32_e32 v94, v46, v69
	v_add_f32_e32 v95, v49, v71
	v_sub_f32_e32 v46, v43, v40
	v_sub_f32_e32 v49, v42, v41
	;; [unrolled: 1-line block ×4, first 2 shown]
	v_add_f32_e32 v104, v31, v48
	v_fmamk_f32 v69, v36, 0x3f737871, v67
	v_fmac_f32_e32 v67, 0xbf737871, v36
	v_fmamk_f32 v71, v37, 0xbf737871, v34
	v_fmac_f32_e32 v34, 0x3f737871, v37
	v_add_f32_e32 v38, v38, v53
	v_fma_f32 v51, -0.5, v39, v28
	v_add_f32_e32 v55, v50, v52
	v_fma_f32 v31, -0.5, v54, v28
	v_fma_f32 v52, -0.5, v98, v29
	;; [unrolled: 1-line block ×3, first 2 shown]
	v_fmac_f32_e32 v35, -0.5, v70
	v_sub_f32_e32 v96, v44, v45
	v_sub_f32_e32 v97, v32, v30
	;; [unrolled: 1-line block ×6, first 2 shown]
	v_fmamk_f32 v70, v90, 0xbf737871, v68
	v_fmac_f32_e32 v69, 0x3f167918, v37
	v_fmac_f32_e32 v67, 0xbf167918, v37
	;; [unrolled: 1-line block ×4, first 2 shown]
	v_add_f32_e32 v74, v38, v74
	v_fmamk_f32 v38, v46, 0xbf737871, v51
	v_fmamk_f32 v36, v49, 0x3f737871, v31
	;; [unrolled: 1-line block ×5, first 2 shown]
	v_fmac_f32_e32 v35, 0xbf737871, v91
	v_fmac_f32_e32 v68, 0x3f737871, v90
	v_add_f32_e32 v54, v96, v97
	v_add_f32_e32 v53, v99, v100
	;; [unrolled: 1-line block ×3, first 2 shown]
	v_fmac_f32_e32 v70, 0xbf167918, v91
	v_fmac_f32_e32 v38, 0xbf167918, v49
	;; [unrolled: 1-line block ×8, first 2 shown]
	v_add_f32_e32 v73, v104, v73
	v_fmac_f32_e32 v69, 0x3e9e377a, v92
	v_fmac_f32_e32 v70, 0x3e9e377a, v94
	;; [unrolled: 1-line block ×12, first 2 shown]
	ds_write2_b64 v88, v[73:74], v[69:70] offset1:66
	ds_write2_b64 v88, v[71:72], v[34:35] offset0:132 offset1:198
	ds_write_b64 v88, v[67:68] offset:2112
	s_and_saveexec_b32 s8, s1
	s_cbranch_execz .LBB0_15
; %bb.14:
	v_mul_f32_e32 v34, 0x3f737871, v46
	v_mul_f32_e32 v35, 0x3f167918, v49
	;; [unrolled: 1-line block ×3, first 2 shown]
	v_add_f32_e32 v43, v29, v43
	v_add_f32_e32 v28, v28, v45
	v_add_f32_e32 v34, v51, v34
	v_mul_f32_e32 v49, 0x3f737871, v49
	v_mul_f32_e32 v68, 0x3f167918, v47
	;; [unrolled: 1-line block ×4, first 2 shown]
	v_sub_f32_e32 v52, v52, v67
	v_add_f32_e32 v34, v35, v34
	v_add_f32_e32 v35, v43, v42
	v_add_f32_e32 v42, v28, v44
	v_mul_f32_e32 v46, 0x3f167918, v46
	v_mul_f32_e32 v33, 0x3f167918, v33
	v_add_f32_e32 v43, v47, v48
	v_sub_f32_e32 v31, v31, v49
	v_mul_f32_e32 v53, 0x3e9e377a, v53
	v_sub_f32_e32 v51, v52, v68
	v_add_f32_e32 v28, v55, v34
	v_add_f32_e32 v34, v35, v41
	;; [unrolled: 1-line block ×3, first 2 shown]
	v_mov_b32_e32 v35, 3
	v_mul_f32_e32 v54, 0x3e9e377a, v54
	v_mul_f32_e32 v45, 0x3e9e377a, v50
	v_sub_f32_e32 v33, v43, v33
	v_add_f32_e32 v41, v46, v31
	v_add_f32_e32 v29, v53, v51
	v_add_f32_e32 v31, v34, v40
	v_add_f32_e32 v30, v32, v30
	v_lshlrev_b32_sdwa v34, v35, v87 dst_sel:DWORD dst_unused:UNUSED_PAD src0_sel:DWORD src1_sel:WORD_0
	v_add_f32_e32 v33, v45, v33
	v_add_f32_e32 v32, v54, v41
	ds_write2_b64 v34, v[30:31], v[28:29] offset1:66
	ds_write2_b64 v34, v[32:33], v[36:37] offset0:132 offset1:198
	ds_write_b64 v34, v[38:39] offset:2112
.LBB0_15:
	s_or_b32 exec_lo, exec_lo, s8
	v_mad_u64_u32 v[32:33], null, v76, 24, s[2:3]
	s_waitcnt lgkmcnt(0)
	s_barrier
	buffer_gl0_inv
	v_add_nc_u32_e32 v71, 0x800, v77
	v_add_nc_u32_e32 v72, 0x1400, v77
	v_add_nc_u32_e32 v73, 0x1e00, v77
	v_add_co_u32 v28, s2, 0x800, v32
	v_add_co_ci_u32_e64 v29, s2, 0, v33, s2
	v_add_co_u32 v34, s2, 0x9f8, v32
	v_add_co_ci_u32_e64 v35, s2, 0, v33, s2
	s_clause 0x1
	global_load_dwordx4 v[28:31], v[28:29], off offset:504
	global_load_dwordx2 v[67:68], v[34:35], off offset:16
	v_add_co_u32 v34, s2, 0x1800, v32
	v_add_co_ci_u32_e64 v35, s2, 0, v33, s2
	v_add_co_u32 v40, s2, 0x1970, v32
	v_add_co_ci_u32_e64 v41, s2, 0, v33, s2
	s_clause 0x1
	global_load_dwordx4 v[32:35], v[34:35], off offset:368
	global_load_dwordx2 v[69:70], v[40:41], off offset:16
	ds_read2_b64 v[40:43], v71 offset0:74 offset1:239
	ds_read2_b64 v[44:47], v72 offset0:20 offset1:185
	;; [unrolled: 1-line block ×3, first 2 shown]
	ds_read2_b64 v[52:55], v77 offset1:165
	s_waitcnt vmcnt(3) lgkmcnt(3)
	v_mul_f32_e32 v74, v41, v29
	v_mul_f32_e32 v89, v40, v29
	s_waitcnt lgkmcnt(2)
	v_mul_f32_e32 v90, v45, v31
	v_mul_f32_e32 v91, v44, v31
	s_waitcnt vmcnt(2) lgkmcnt(1)
	v_mul_f32_e32 v92, v49, v68
	v_mul_f32_e32 v93, v48, v68
	v_fma_f32 v40, v40, v28, -v74
	v_fmac_f32_e32 v89, v41, v28
	v_fma_f32 v41, v44, v30, -v90
	v_fmac_f32_e32 v91, v45, v30
	v_fma_f32 v44, v48, v67, -v92
	s_waitcnt vmcnt(1)
	v_mul_f32_e32 v94, v43, v33
	v_mul_f32_e32 v95, v42, v33
	;; [unrolled: 1-line block ×4, first 2 shown]
	s_waitcnt vmcnt(0)
	v_mul_f32_e32 v98, v51, v70
	v_mul_f32_e32 v99, v50, v70
	v_fmac_f32_e32 v93, v49, v67
	v_fma_f32 v42, v42, v32, -v94
	v_fmac_f32_e32 v95, v43, v32
	v_fma_f32 v43, v46, v34, -v96
	;; [unrolled: 2-line block ×3, first 2 shown]
	v_fmac_f32_e32 v99, v51, v69
	s_waitcnt lgkmcnt(0)
	v_sub_f32_e32 v41, v52, v41
	v_sub_f32_e32 v74, v53, v91
	;; [unrolled: 1-line block ×8, first 2 shown]
	v_fma_f32 v52, v52, 2.0, -v41
	v_fma_f32 v53, v53, 2.0, -v74
	v_fma_f32 v40, v40, 2.0, -v44
	v_fma_f32 v49, v89, 2.0, -v46
	v_add_f32_e32 v51, v74, v44
	v_fma_f32 v89, v54, 2.0, -v90
	v_fma_f32 v92, v55, 2.0, -v91
	;; [unrolled: 1-line block ×4, first 2 shown]
	v_sub_f32_e32 v50, v41, v46
	v_sub_f32_e32 v46, v90, v45
	v_add_f32_e32 v47, v91, v43
	v_sub_f32_e32 v48, v52, v40
	v_sub_f32_e32 v49, v53, v49
	;; [unrolled: 1-line block ×4, first 2 shown]
	v_fma_f32 v42, v41, 2.0, -v50
	v_fma_f32 v43, v74, 2.0, -v51
	;; [unrolled: 1-line block ×8, first 2 shown]
	ds_write2_b64 v73, v[50:51], v[46:47] offset0:30 offset1:195
	ds_write2_b64 v71, v[42:43], v[54:55] offset0:74 offset1:239
	;; [unrolled: 1-line block ×3, first 2 shown]
	ds_write2_b64 v77, v[40:41], v[52:53] offset1:165
	s_waitcnt lgkmcnt(0)
	s_barrier
	buffer_gl0_inv
	s_and_saveexec_b32 s3, vcc_lo
	s_cbranch_execz .LBB0_17
; %bb.16:
	v_add_co_u32 v93, s2, s14, v75
	v_add_co_ci_u32_e64 v94, null, s15, 0, s2
	v_add_nc_u32_e32 v126, 0x800, v75
	v_add_co_u32 v71, s2, 0x2800, v93
	v_add_co_ci_u32_e64 v72, s2, 0, v94, s2
	v_add_co_u32 v73, s2, 0x2940, v93
	v_add_co_ci_u32_e64 v74, s2, 0, v94, s2
	global_load_dwordx2 v[71:72], v[71:72], off offset:320
	v_add_co_u32 v89, s2, 0x3000, v93
	v_add_co_ci_u32_e64 v90, s2, 0, v94, s2
	v_add_co_u32 v91, s2, 0x3800, v93
	v_add_co_ci_u32_e64 v92, s2, 0, v94, s2
	s_clause 0x2
	global_load_dwordx2 v[105:106], v[73:74], off offset:960
	global_load_dwordx2 v[107:108], v[89:90], off offset:1152
	global_load_dwordx2 v[109:110], v[73:74], off offset:1920
	v_add_co_u32 v73, s2, 0x4000, v93
	v_add_co_ci_u32_e64 v74, s2, 0, v94, s2
	v_add_co_u32 v89, s2, 0x4800, v93
	v_add_co_ci_u32_e64 v90, s2, 0, v94, s2
	s_clause 0x6
	global_load_dwordx2 v[111:112], v[91:92], off offset:64
	global_load_dwordx2 v[113:114], v[91:92], off offset:1024
	;; [unrolled: 1-line block ×7, first 2 shown]
	ds_read_b64 v[73:74], v77
	v_add_nc_u32_e32 v127, 0x1000, v75
	v_add_nc_u32_e32 v128, 0x1800, v75
	;; [unrolled: 1-line block ×3, first 2 shown]
	s_waitcnt vmcnt(10) lgkmcnt(0)
	v_mul_f32_e32 v89, v74, v72
	v_mul_f32_e32 v90, v73, v72
	v_fma_f32 v89, v73, v71, -v89
	v_fmac_f32_e32 v90, v74, v71
	ds_write_b64 v77, v[89:90]
	ds_read2_b64 v[71:74], v75 offset0:120 offset1:240
	ds_read2_b64 v[89:92], v126 offset0:104 offset1:224
	;; [unrolled: 1-line block ×5, first 2 shown]
	s_waitcnt vmcnt(9) lgkmcnt(4)
	v_mul_f32_e32 v130, v72, v106
	v_mul_f32_e32 v125, v71, v106
	s_waitcnt vmcnt(7)
	v_mul_f32_e32 v131, v74, v110
	v_mul_f32_e32 v106, v73, v110
	s_waitcnt lgkmcnt(3)
	v_mul_f32_e32 v132, v90, v108
	v_mul_f32_e32 v110, v89, v108
	s_waitcnt vmcnt(6)
	v_mul_f32_e32 v133, v92, v112
	v_mul_f32_e32 v108, v91, v112
	s_waitcnt vmcnt(5) lgkmcnt(2)
	v_mul_f32_e32 v134, v94, v114
	v_mul_f32_e32 v112, v93, v114
	s_waitcnt vmcnt(4)
	v_mul_f32_e32 v135, v96, v116
	v_mul_f32_e32 v114, v95, v116
	s_waitcnt vmcnt(3) lgkmcnt(1)
	v_mul_f32_e32 v136, v98, v118
	v_mul_f32_e32 v116, v97, v118
	s_waitcnt vmcnt(2)
	v_mul_f32_e32 v137, v100, v120
	v_mul_f32_e32 v118, v99, v120
	s_waitcnt vmcnt(1) lgkmcnt(0)
	v_mul_f32_e32 v138, v102, v122
	v_mul_f32_e32 v120, v101, v122
	s_waitcnt vmcnt(0)
	v_mul_f32_e32 v139, v104, v124
	v_mul_f32_e32 v122, v103, v124
	v_fma_f32 v124, v71, v105, -v130
	v_fmac_f32_e32 v125, v72, v105
	v_fma_f32 v105, v73, v109, -v131
	v_fmac_f32_e32 v106, v74, v109
	;; [unrolled: 2-line block ×10, first 2 shown]
	ds_write2_b64 v75, v[124:125], v[105:106] offset0:120 offset1:240
	ds_write2_b64 v126, v[109:110], v[107:108] offset0:104 offset1:224
	;; [unrolled: 1-line block ×5, first 2 shown]
.LBB0_17:
	s_or_b32 exec_lo, exec_lo, s3
	s_waitcnt lgkmcnt(0)
	s_barrier
	buffer_gl0_inv
	s_and_saveexec_b32 s2, vcc_lo
	s_cbranch_execz .LBB0_19
; %bb.18:
	v_add_nc_u32_e32 v36, 0x400, v77
	v_add_nc_u32_e32 v37, 0xc00, v77
	;; [unrolled: 1-line block ×4, first 2 shown]
	ds_read2_b64 v[40:43], v77 offset1:120
	ds_read2_b64 v[48:51], v36 offset0:112 offset1:232
	ds_read2_b64 v[52:55], v37 offset0:96 offset1:216
	;; [unrolled: 1-line block ×4, first 2 shown]
	ds_read_b64 v[57:58], v77 offset:9600
.LBB0_19:
	s_or_b32 exec_lo, exec_lo, s2
	s_waitcnt lgkmcnt(0)
	v_sub_f32_e32 v98, v43, v58
	v_add_f32_e32 v103, v58, v43
	v_add_f32_e32 v89, v57, v42
	v_sub_f32_e32 v91, v42, v57
	v_add_f32_e32 v104, v39, v49
	v_mul_f32_e32 v107, 0xbf68dda4, v98
	v_sub_f32_e32 v100, v49, v39
	v_mul_f32_e32 v111, 0x3ed4b147, v103
	v_add_f32_e32 v90, v38, v48
	v_mul_f32_e32 v116, 0xbf7d64f0, v98
	v_fma_f32 v71, 0x3ed4b147, v89, -v107
	v_mul_f32_e32 v118, 0xbe11bafb, v103
	v_mul_f32_e32 v106, 0xbf4178ce, v100
	v_fmamk_f32 v72, v91, 0xbf68dda4, v111
	v_sub_f32_e32 v92, v48, v38
	v_mul_f32_e32 v113, 0xbf27a4f4, v104
	v_add_f32_e32 v108, v37, v51
	v_fma_f32 v73, 0xbe11bafb, v89, -v116
	v_add_f32_e32 v71, v40, v71
	v_fmamk_f32 v74, v91, 0xbf7d64f0, v118
	v_fma_f32 v93, 0xbf27a4f4, v90, -v106
	v_add_f32_e32 v72, v41, v72
	v_fmamk_f32 v95, v92, 0xbf4178ce, v113
	v_sub_f32_e32 v101, v51, v37
	v_mul_f32_e32 v119, 0x3e903f40, v100
	v_mul_f32_e32 v123, 0xbf75a155, v104
	v_sub_f32_e32 v94, v50, v36
	v_mul_f32_e32 v117, 0xbf75a155, v108
	v_add_f32_e32 v73, v40, v73
	v_add_f32_e32 v74, v41, v74
	;; [unrolled: 1-line block ×4, first 2 shown]
	v_mul_f32_e32 v110, 0x3e903f40, v101
	v_fma_f32 v96, 0xbf75a155, v90, -v119
	v_fmamk_f32 v97, v92, 0x3e903f40, v123
	v_add_f32_e32 v72, v95, v72
	v_fmamk_f32 v95, v94, 0x3e903f40, v117
	v_mul_f32_e32 v121, 0x3f68dda4, v101
	v_sub_f32_e32 v102, v53, v47
	v_fma_f32 v99, 0xbf75a155, v93, -v110
	v_add_f32_e32 v73, v96, v73
	v_add_f32_e32 v74, v97, v74
	;; [unrolled: 1-line block ×4, first 2 shown]
	v_fma_f32 v97, 0x3ed4b147, v93, -v121
	v_add_f32_e32 v95, v46, v52
	v_mul_f32_e32 v114, 0x3f7d64f0, v102
	v_mul_f32_e32 v124, 0xbf0a6770, v102
	v_add_f32_e32 v71, v99, v71
	v_mul_f32_e32 v125, 0x3ed4b147, v108
	v_sub_f32_e32 v96, v52, v46
	v_mul_f32_e32 v120, 0xbe11bafb, v112
	v_fma_f32 v105, 0xbe11bafb, v95, -v114
	v_add_f32_e32 v73, v97, v73
	v_fma_f32 v109, 0x3f575c64, v95, -v124
	v_fmamk_f32 v99, v94, 0x3f68dda4, v125
	v_fmamk_f32 v97, v96, 0x3f7d64f0, v120
	v_add_f32_e32 v71, v105, v71
	v_mul_f32_e32 v127, 0x3f575c64, v112
	v_add_f32_e32 v73, v109, v73
	v_sub_f32_e32 v105, v55, v45
	v_add_f32_e32 v109, v45, v55
	v_add_f32_e32 v74, v99, v74
	;; [unrolled: 1-line block ×3, first 2 shown]
	v_fmamk_f32 v129, v96, 0xbf0a6770, v127
	v_add_f32_e32 v97, v44, v54
	v_sub_f32_e32 v99, v54, v44
	v_mul_f32_e32 v115, 0x3f0a6770, v105
	v_mul_f32_e32 v122, 0x3f575c64, v109
	;; [unrolled: 1-line block ×4, first 2 shown]
	v_add_f32_e32 v74, v129, v74
	v_fma_f32 v129, 0x3f575c64, v97, -v115
	v_fmamk_f32 v130, v99, 0x3f0a6770, v122
	v_fma_f32 v131, 0xbf27a4f4, v97, -v126
	v_fmamk_f32 v132, v99, 0xbf4178ce, v128
	v_add_f32_e32 v71, v129, v71
	v_add_f32_e32 v72, v130, v72
	;; [unrolled: 1-line block ×4, first 2 shown]
	s_barrier
	buffer_gl0_inv
	s_and_saveexec_b32 s2, vcc_lo
	s_cbranch_execz .LBB0_21
; %bb.20:
	v_mul_f32_e32 v129, 0xbe903f40, v91
	v_mul_f32_e32 v131, 0x3f0a6770, v92
	;; [unrolled: 1-line block ×5, first 2 shown]
	v_fmamk_f32 v130, v103, 0xbf75a155, v129
	v_fmamk_f32 v132, v104, 0x3f575c64, v131
	v_mul_f32_e32 v133, 0xbf68dda4, v91
	v_mul_f32_e32 v139, 0xbf75a155, v90
	;; [unrolled: 1-line block ×3, first 2 shown]
	v_add_f32_e32 v130, v41, v130
	v_fma_f32 v156, 0xbf75a155, v89, -v153
	v_mul_f32_e32 v157, 0x3f0a6770, v100
	v_add_f32_e32 v116, v136, v116
	v_mul_f32_e32 v138, 0xbf4178ce, v92
	v_add_f32_e32 v130, v132, v130
	v_fmamk_f32 v132, v108, 0xbf27a4f4, v150
	v_mul_f32_e32 v143, 0x3ed4b147, v93
	v_mul_f32_e32 v158, 0xbf7d64f0, v99
	v_add_f32_e32 v156, v40, v156
	v_fma_f32 v159, 0x3f575c64, v90, -v157
	v_add_f32_e32 v130, v132, v130
	v_fmamk_f32 v132, v112, 0x3ed4b147, v154
	v_mul_f32_e32 v160, 0xbf4178ce, v101
	v_add_f32_e32 v116, v40, v116
	v_add_f32_e32 v119, v139, v119
	v_sub_f32_e32 v111, v111, v133
	v_mul_f32_e32 v142, 0x3e903f40, v94
	v_mul_f32_e32 v147, 0x3f575c64, v95
	v_add_f32_e32 v130, v132, v130
	v_fmamk_f32 v132, v109, 0xbe11bafb, v158
	v_fma_f32 v129, 0xbf75a155, v103, -v129
	v_add_f32_e32 v156, v159, v156
	v_fma_f32 v159, 0xbf27a4f4, v93, -v160
	v_mul_f32_e32 v161, 0x3f68dda4, v102
	v_add_f32_e32 v116, v119, v116
	v_add_f32_e32 v119, v143, v121
	;; [unrolled: 1-line block ×3, first 2 shown]
	v_sub_f32_e32 v113, v113, v138
	v_mul_f32_e32 v135, 0x3ed4b147, v89
	v_mul_f32_e32 v146, 0x3f7d64f0, v96
	v_add_f32_e32 v130, v132, v130
	v_add_f32_e32 v129, v41, v129
	v_fma_f32 v131, 0x3f575c64, v104, -v131
	v_add_f32_e32 v132, v159, v156
	v_fma_f32 v156, 0x3ed4b147, v95, -v161
	v_mul_f32_e32 v159, 0xbf7d64f0, v105
	v_fmac_f32_e32 v153, 0xbf75a155, v89
	v_add_f32_e32 v116, v119, v116
	v_add_f32_e32 v119, v147, v124
	v_add_f32_e32 v111, v113, v111
	v_sub_f32_e32 v113, v117, v142
	v_mul_f32_e32 v137, 0xbf27a4f4, v90
	v_add_f32_e32 v129, v131, v129
	v_fma_f32 v131, 0xbf27a4f4, v108, -v150
	v_add_f32_e32 v132, v156, v132
	v_fma_f32 v150, 0xbe11bafb, v97, -v159
	v_add_f32_e32 v153, v40, v153
	v_fmac_f32_e32 v157, 0x3f575c64, v90
	v_add_f32_e32 v116, v119, v116
	v_add_f32_e32 v107, v135, v107
	;; [unrolled: 1-line block ×3, first 2 shown]
	v_sub_f32_e32 v113, v120, v146
	v_mul_f32_e32 v119, 0x3f575c64, v103
	v_mul_f32_e32 v141, 0xbf75a155, v93
	;; [unrolled: 1-line block ×3, first 2 shown]
	v_add_f32_e32 v131, v131, v129
	v_mul_f32_e32 v156, 0xbf27a4f4, v103
	v_add_f32_e32 v129, v150, v132
	v_add_f32_e32 v132, v157, v153
	v_fmac_f32_e32 v160, 0xbf27a4f4, v93
	v_add_f32_e32 v103, v40, v107
	v_add_f32_e32 v106, v137, v106
	;; [unrolled: 1-line block ×3, first 2 shown]
	v_fmamk_f32 v111, v91, 0x3f0a6770, v119
	v_mul_f32_e32 v113, 0x3ed4b147, v104
	v_add_f32_e32 v43, v43, v41
	v_mul_f32_e32 v153, 0xbe11bafb, v104
	v_add_f32_e32 v157, v160, v132
	v_mul_f32_e32 v160, 0x3f575c64, v108
	v_sub_f32_e32 v104, v122, v151
	v_add_f32_e32 v103, v106, v103
	v_add_f32_e32 v106, v141, v110
	;; [unrolled: 1-line block ×3, first 2 shown]
	v_fmamk_f32 v111, v92, 0x3f68dda4, v113
	v_mul_f32_e32 v108, 0xbe11bafb, v108
	v_add_f32_e32 v43, v49, v43
	v_add_f32_e32 v42, v42, v40
	v_fma_f32 v154, 0x3ed4b147, v112, -v154
	v_add_f32_e32 v104, v104, v107
	v_add_f32_e32 v107, v111, v110
	v_fmamk_f32 v110, v94, 0x3f7d64f0, v108
	v_mul_f32_e32 v111, 0xbf27a4f4, v112
	v_mul_f32_e32 v49, 0xbf0a6770, v98
	v_add_f32_e32 v43, v51, v43
	v_add_f32_e32 v42, v48, v42
	;; [unrolled: 1-line block ×3, first 2 shown]
	v_fma_f32 v154, 0xbe11bafb, v109, -v158
	v_mul_f32_e32 v162, 0x3f7d64f0, v100
	v_add_f32_e32 v107, v110, v107
	v_fmamk_f32 v110, v96, 0x3f4178ce, v111
	v_fmamk_f32 v48, v89, 0x3f575c64, v49
	v_mul_f32_e32 v51, 0xbf68dda4, v100
	v_mul_f32_e32 v100, 0xbf75a155, v109
	v_add_f32_e32 v43, v53, v43
	v_add_f32_e32 v42, v50, v42
	v_add_f32_e32 v132, v154, v131
	v_mul_f32_e32 v154, 0xbf4178ce, v98
	v_add_f32_e32 v98, v110, v107
	v_add_f32_e32 v48, v40, v48
	v_fmamk_f32 v50, v90, 0x3ed4b147, v51
	v_mul_f32_e32 v53, 0xbf7d64f0, v101
	v_add_f32_e32 v43, v55, v43
	v_add_f32_e32 v42, v52, v42
	v_fmamk_f32 v52, v99, 0x3e903f40, v100
	v_add_f32_e32 v48, v50, v48
	v_fmamk_f32 v50, v93, 0xbe11bafb, v53
	v_add_f32_e32 v45, v45, v43
	v_add_f32_e32 v42, v54, v42
	;; [unrolled: 1-line block ×3, first 2 shown]
	v_mul_f32_e32 v52, 0xbf4178ce, v102
	v_fmamk_f32 v150, v91, 0x3f4178ce, v156
	v_add_f32_e32 v48, v50, v48
	v_add_f32_e32 v45, v47, v45
	;; [unrolled: 1-line block ×3, first 2 shown]
	v_fmac_f32_e32 v156, 0xbf4178ce, v91
	v_fmamk_f32 v44, v95, 0xbf27a4f4, v52
	v_mul_f32_e32 v47, 0xbe903f40, v105
	v_mul_f32_e32 v134, 0xbf7d64f0, v91
	v_fmac_f32_e32 v161, 0x3ed4b147, v95
	v_fmamk_f32 v158, v92, 0xbf7d64f0, v153
	v_add_f32_e32 v37, v37, v45
	v_add_f32_e32 v42, v46, v42
	;; [unrolled: 1-line block ×3, first 2 shown]
	v_fmac_f32_e32 v153, 0x3f7d64f0, v92
	v_add_f32_e32 v44, v44, v48
	v_fmamk_f32 v46, v97, 0xbf75a155, v47
	v_mul_f32_e32 v140, 0x3e903f40, v92
	v_sub_f32_e32 v118, v118, v134
	v_add_f32_e32 v131, v161, v157
	v_fmamk_f32 v157, v94, 0x3f0a6770, v160
	v_fmac_f32_e32 v159, 0xbe11bafb, v97
	v_fmamk_f32 v161, v89, 0xbf27a4f4, v154
	v_add_f32_e32 v37, v39, v37
	v_add_f32_e32 v36, v36, v42
	;; [unrolled: 1-line block ×3, first 2 shown]
	v_fmac_f32_e32 v160, 0xbf0a6770, v94
	v_add_f32_e32 v42, v46, v44
	v_fma_f32 v44, 0xbf27a4f4, v89, -v154
	v_mul_f32_e32 v144, 0x3f68dda4, v94
	v_add_f32_e32 v118, v41, v118
	v_sub_f32_e32 v123, v123, v140
	v_add_f32_e32 v150, v41, v150
	v_add_f32_e32 v131, v159, v131
	;; [unrolled: 1-line block ×3, first 2 shown]
	v_fmamk_f32 v161, v90, 0xbe11bafb, v162
	v_mul_f32_e32 v163, 0xbf0a6770, v101
	v_add_f32_e32 v36, v38, v36
	v_add_f32_e32 v38, v160, v39
	;; [unrolled: 1-line block ×3, first 2 shown]
	v_fma_f32 v44, 0xbe11bafb, v90, -v162
	v_fmac_f32_e32 v119, 0xbf0a6770, v91
	v_fma_f32 v45, 0x3f575c64, v89, -v49
	v_mul_f32_e32 v148, 0xbf0a6770, v96
	v_add_f32_e32 v118, v123, v118
	v_sub_f32_e32 v123, v125, v144
	v_add_f32_e32 v150, v158, v150
	v_mul_f32_e32 v158, 0xbf75a155, v112
	v_add_f32_e32 v134, v161, v159
	v_mul_f32_e32 v161, 0xbe903f40, v102
	v_add_f32_e32 v39, v44, v39
	v_fma_f32 v44, 0x3f575c64, v93, -v163
	v_add_f32_e32 v41, v41, v119
	v_fmac_f32_e32 v113, 0xbf68dda4, v92
	v_add_f32_e32 v40, v40, v45
	v_fma_f32 v45, 0x3ed4b147, v90, -v51
	v_mul_f32_e32 v145, 0xbe11bafb, v95
	v_mul_f32_e32 v155, 0xbf4178ce, v99
	v_add_f32_e32 v118, v123, v118
	v_sub_f32_e32 v123, v127, v148
	v_add_f32_e32 v150, v157, v150
	v_fmamk_f32 v157, v96, 0x3e903f40, v158
	v_fmamk_f32 v159, v93, 0x3f575c64, v163
	v_add_f32_e32 v39, v44, v39
	v_fma_f32 v44, 0xbf75a155, v95, -v161
	v_add_f32_e32 v41, v113, v41
	v_fmac_f32_e32 v108, 0xbf7d64f0, v94
	v_add_f32_e32 v40, v45, v40
	v_fma_f32 v45, 0xbe11bafb, v93, -v53
	v_mul_f32_e32 v149, 0x3f575c64, v97
	v_mul_f32_e32 v152, 0xbf27a4f4, v97
	v_add_f32_e32 v118, v123, v118
	v_sub_f32_e32 v121, v128, v155
	v_add_f32_e32 v103, v106, v103
	v_add_f32_e32 v106, v145, v114
	;; [unrolled: 1-line block ×3, first 2 shown]
	v_mul_f32_e32 v157, 0x3ed4b147, v109
	v_add_f32_e32 v140, v159, v134
	v_fmamk_f32 v159, v95, 0xbf75a155, v161
	v_mul_f32_e32 v136, 0x3f68dda4, v105
	v_fmac_f32_e32 v158, 0xbe903f40, v96
	v_add_f32_e32 v44, v44, v39
	v_add_f32_e32 v39, v108, v41
	v_fmac_f32_e32 v111, 0xbf4178ce, v96
	v_add_f32_e32 v40, v45, v40
	v_fma_f32 v41, 0xbf27a4f4, v95, -v52
	v_mov_b32_e32 v46, 3
	v_add_f32_e32 v117, v121, v118
	v_add_f32_e32 v118, v152, v126
	;; [unrolled: 1-line block ×4, first 2 shown]
	v_fmamk_f32 v164, v99, 0xbf68dda4, v157
	v_add_f32_e32 v125, v159, v140
	v_fmamk_f32 v127, v97, 0x3ed4b147, v136
	v_add_f32_e32 v38, v158, v38
	v_fmac_f32_e32 v157, 0x3f68dda4, v99
	v_fma_f32 v45, 0x3ed4b147, v97, -v136
	v_add_f32_e32 v37, v58, v37
	v_add_f32_e32 v36, v57, v36
	;; [unrolled: 1-line block ×3, first 2 shown]
	v_fmac_f32_e32 v100, 0xbe903f40, v99
	v_add_f32_e32 v40, v41, v40
	v_fma_f32 v47, 0xbf75a155, v97, -v47
	v_lshlrev_b32_sdwa v46, v46, v78 dst_sel:DWORD dst_unused:UNUSED_PAD src0_sel:DWORD src1_sel:WORD_0
	v_add_f32_e32 v116, v118, v116
	v_add_f32_e32 v103, v106, v103
	;; [unrolled: 1-line block ×8, first 2 shown]
	ds_write2_b64 v46, v[36:37], v[42:43] offset1:1
	ds_write2_b64 v46, v[103:104], v[116:117] offset0:2 offset1:3
	ds_write2_b64 v46, v[133:134], v[131:132] offset0:4 offset1:5
	;; [unrolled: 1-line block ×4, first 2 shown]
	ds_write_b64 v46, v[40:41] offset:80
.LBB0_21:
	s_or_b32 exec_lo, exec_lo, s2
	v_add_nc_u32_e32 v36, 0x1400, v77
	v_add_nc_u32_e32 v40, 0x1e00, v77
	s_waitcnt lgkmcnt(0)
	s_barrier
	buffer_gl0_inv
	ds_read2_b64 v[36:39], v36 offset0:20 offset1:185
	ds_read2_b64 v[40:43], v40 offset0:30 offset1:195
	v_add_nc_u32_e32 v48, 0x800, v77
	ds_read2_b64 v[44:47], v77 offset1:165
	ds_read2_b64 v[52:55], v48 offset0:74 offset1:239
	s_waitcnt lgkmcnt(0)
	s_barrier
	buffer_gl0_inv
	v_mul_f32_e32 v48, v64, v37
	v_mul_f32_e32 v49, v64, v36
	;; [unrolled: 1-line block ×8, first 2 shown]
	v_fmac_f32_e32 v48, v63, v36
	v_fma_f32 v37, v63, v37, -v49
	v_fmac_f32_e32 v50, v65, v38
	v_fma_f32 v39, v65, v39, -v51
	v_fmac_f32_e32 v57, v61, v40
	v_fma_f32 v41, v61, v41, -v58
	v_fmac_f32_e32 v62, v59, v42
	v_fma_f32 v42, v59, v43, -v60
	v_sub_f32_e32 v36, v44, v48
	v_sub_f32_e32 v37, v45, v37
	;; [unrolled: 1-line block ×8, first 2 shown]
	v_fma_f32 v42, v44, 2.0, -v36
	v_fma_f32 v43, v45, 2.0, -v37
	v_fma_f32 v44, v46, 2.0, -v38
	v_fma_f32 v45, v47, 2.0, -v39
	v_fma_f32 v46, v52, 2.0, -v40
	v_fma_f32 v47, v53, 2.0, -v41
	v_fma_f32 v48, v54, 2.0, -v50
	v_fma_f32 v49, v55, 2.0, -v51
	ds_write2_b64 v84, v[42:43], v[36:37] offset1:11
	ds_write2_b64 v83, v[44:45], v[38:39] offset1:11
	;; [unrolled: 1-line block ×4, first 2 shown]
	v_add_nc_u32_e32 v40, 0xc00, v77
	v_add_nc_u32_e32 v41, 0x1a00, v77
	s_waitcnt lgkmcnt(0)
	s_barrier
	buffer_gl0_inv
	ds_read2_b64 v[36:39], v77 offset1:165
	ds_read2_b64 v[44:47], v40 offset0:56 offset1:221
	ds_read2_b64 v[40:43], v41 offset0:48 offset1:213
	s_and_saveexec_b32 s2, s0
	s_cbranch_execz .LBB0_23
; %bb.22:
	ds_read_b64 v[48:49], v77 offset:2640
	ds_read_b64 v[50:51], v77 offset:6160
	;; [unrolled: 1-line block ×3, first 2 shown]
.LBB0_23:
	s_or_b32 exec_lo, exec_lo, s2
	s_waitcnt lgkmcnt(1)
	v_mul_f32_e32 v52, v17, v45
	v_mul_f32_e32 v17, v17, v44
	s_waitcnt lgkmcnt(0)
	v_mul_f32_e32 v53, v19, v41
	v_mul_f32_e32 v19, v19, v40
	v_fmac_f32_e32 v52, v16, v44
	v_fma_f32 v16, v16, v45, -v17
	v_mul_f32_e32 v44, v13, v47
	v_fma_f32 v17, v18, v41, -v19
	v_mul_f32_e32 v19, v15, v43
	v_mul_f32_e32 v15, v15, v42
	v_fmac_f32_e32 v53, v18, v40
	v_mul_f32_e32 v13, v13, v46
	v_mul_f32_e32 v41, v9, v51
	v_fmac_f32_e32 v19, v14, v42
	v_mul_f32_e32 v9, v9, v50
	v_fma_f32 v42, v14, v43, -v15
	v_mul_f32_e32 v43, v11, v74
	v_mul_f32_e32 v11, v11, v73
	v_fma_f32 v40, v12, v47, -v13
	v_fmac_f32_e32 v41, v8, v50
	v_fma_f32 v8, v8, v51, -v9
	v_add_f32_e32 v9, v52, v53
	v_fmac_f32_e32 v43, v10, v73
	v_add_f32_e32 v13, v36, v52
	v_fma_f32 v11, v10, v74, -v11
	v_add_f32_e32 v10, v16, v17
	v_fmac_f32_e32 v44, v12, v46
	v_fma_f32 v12, -0.5, v9, v36
	v_sub_f32_e32 v9, v16, v17
	v_add_f32_e32 v14, v13, v53
	v_add_f32_e32 v15, v37, v16
	v_fma_f32 v13, -0.5, v10, v37
	v_sub_f32_e32 v10, v52, v53
	v_fmamk_f32 v16, v9, 0xbf5db3d7, v12
	v_fmac_f32_e32 v12, 0x3f5db3d7, v9
	v_add_f32_e32 v15, v15, v17
	v_add_f32_e32 v9, v44, v19
	v_fmamk_f32 v17, v10, 0x3f5db3d7, v13
	v_fmac_f32_e32 v13, 0xbf5db3d7, v10
	v_add_f32_e32 v10, v40, v42
	v_add_f32_e32 v18, v38, v44
	v_fma_f32 v38, -0.5, v9, v38
	v_sub_f32_e32 v9, v40, v42
	v_add_f32_e32 v37, v39, v40
	v_fmac_f32_e32 v39, -0.5, v10
	v_sub_f32_e32 v10, v44, v19
	v_add_f32_e32 v18, v18, v19
	v_fmamk_f32 v36, v9, 0xbf5db3d7, v38
	v_fmac_f32_e32 v38, 0x3f5db3d7, v9
	v_add_f32_e32 v19, v37, v42
	v_add_f32_e32 v9, v41, v43
	v_fmamk_f32 v37, v10, 0x3f5db3d7, v39
	v_fmac_f32_e32 v39, 0xbf5db3d7, v10
	v_add_f32_e32 v10, v8, v11
	v_add_f32_e32 v40, v41, v48
	v_fmac_f32_e32 v48, -0.5, v9
	v_sub_f32_e32 v9, v8, v11
	v_add_f32_e32 v42, v8, v49
	v_fmac_f32_e32 v49, -0.5, v10
	v_sub_f32_e32 v41, v41, v43
	v_add_f32_e32 v8, v40, v43
	v_fmamk_f32 v10, v9, 0xbf5db3d7, v48
	v_fmac_f32_e32 v48, 0x3f5db3d7, v9
	v_add_f32_e32 v9, v11, v42
	v_fmamk_f32 v11, v41, 0x3f5db3d7, v49
	v_fmac_f32_e32 v49, 0xbf5db3d7, v41
	s_barrier
	buffer_gl0_inv
	ds_write2_b64 v86, v[14:15], v[16:17] offset1:22
	ds_write_b64 v86, v[12:13] offset:352
	ds_write2_b64 v85, v[18:19], v[36:37] offset1:22
	ds_write_b64 v85, v[38:39] offset:352
	s_and_saveexec_b32 s2, s0
	s_cbranch_execz .LBB0_25
; %bb.24:
	v_mad_u16 v12, 0x42, v79, v80
	v_mov_b32_e32 v13, 3
	v_lshlrev_b32_sdwa v12, v13, v12 dst_sel:DWORD dst_unused:UNUSED_PAD src0_sel:DWORD src1_sel:WORD_0
	ds_write2_b64 v12, v[8:9], v[10:11] offset1:22
	ds_write_b64 v12, v[48:49] offset:352
.LBB0_25:
	s_or_b32 exec_lo, exec_lo, s2
	s_waitcnt lgkmcnt(0)
	s_barrier
	buffer_gl0_inv
	ds_read_b64 v[12:13], v77
	ds_read_b64 v[18:19], v77 offset:2112
	ds_read_b64 v[36:37], v77 offset:4224
	;; [unrolled: 1-line block ×4, first 2 shown]
	s_and_saveexec_b32 s0, s1
	s_cbranch_execz .LBB0_27
; %bb.26:
	ds_read_b64 v[38:39], v77 offset:1320
	ds_read_b64 v[8:9], v77 offset:3432
	;; [unrolled: 1-line block ×5, first 2 shown]
.LBB0_27:
	s_or_b32 exec_lo, exec_lo, s0
	s_waitcnt lgkmcnt(2)
	v_mul_f32_e32 v40, v27, v37
	s_waitcnt lgkmcnt(1)
	v_mul_f32_e32 v41, v21, v15
	v_mul_f32_e32 v42, v25, v19
	;; [unrolled: 1-line block ×4, first 2 shown]
	v_fmac_f32_e32 v40, v26, v36
	v_fmac_f32_e32 v41, v20, v14
	s_waitcnt lgkmcnt(0)
	v_mul_f32_e32 v36, v23, v16
	v_fmac_f32_e32 v42, v24, v18
	v_fma_f32 v19, v24, v19, -v25
	v_mul_f32_e32 v21, v21, v14
	v_add_f32_e32 v18, v40, v41
	v_fma_f32 v25, v22, v17, -v36
	v_mul_f32_e32 v17, v23, v17
	v_add_f32_e32 v23, v12, v42
	v_fma_f32 v24, v26, v37, -v27
	v_fma_f32 v14, -0.5, v18, v12
	v_sub_f32_e32 v26, v19, v25
	v_fma_f32 v27, v20, v15, -v21
	v_fmac_f32_e32 v17, v22, v16
	v_add_f32_e32 v15, v23, v40
	v_sub_f32_e32 v18, v42, v40
	v_fmamk_f32 v16, v26, 0xbf737871, v14
	v_sub_f32_e32 v21, v24, v27
	v_sub_f32_e32 v20, v17, v41
	v_fmac_f32_e32 v14, 0x3f737871, v26
	v_add_f32_e32 v22, v42, v17
	v_add_f32_e32 v15, v15, v41
	v_fmac_f32_e32 v16, 0xbf167918, v21
	v_add_f32_e32 v20, v18, v20
	v_fmac_f32_e32 v14, 0x3f167918, v21
	v_fma_f32 v12, -0.5, v22, v12
	v_sub_f32_e32 v22, v40, v42
	v_sub_f32_e32 v23, v41, v17
	v_add_f32_e32 v18, v15, v17
	v_add_f32_e32 v15, v24, v27
	v_fmac_f32_e32 v16, 0x3e9e377a, v20
	v_fmac_f32_e32 v14, 0x3e9e377a, v20
	v_fmamk_f32 v20, v21, 0x3f737871, v12
	v_fmac_f32_e32 v12, 0xbf737871, v21
	v_add_f32_e32 v21, v13, v19
	v_add_f32_e32 v22, v22, v23
	;; [unrolled: 1-line block ×3, first 2 shown]
	v_fma_f32 v15, -0.5, v15, v13
	v_sub_f32_e32 v36, v42, v17
	v_fmac_f32_e32 v20, 0xbf167918, v26
	v_fmac_f32_e32 v12, 0x3f167918, v26
	v_add_f32_e32 v21, v21, v24
	v_sub_f32_e32 v26, v40, v41
	v_fmac_f32_e32 v13, -0.5, v23
	v_fmamk_f32 v17, v36, 0x3f737871, v15
	v_sub_f32_e32 v23, v19, v24
	v_sub_f32_e32 v37, v25, v27
	v_fmac_f32_e32 v20, 0x3e9e377a, v22
	v_fmac_f32_e32 v12, 0x3e9e377a, v22
	v_add_f32_e32 v22, v21, v27
	v_fmamk_f32 v21, v26, 0xbf737871, v13
	v_sub_f32_e32 v19, v24, v19
	v_sub_f32_e32 v24, v27, v25
	v_fmac_f32_e32 v13, 0x3f737871, v26
	v_fmac_f32_e32 v15, 0xbf737871, v36
	;; [unrolled: 1-line block ×3, first 2 shown]
	v_add_f32_e32 v23, v23, v37
	v_fmac_f32_e32 v21, 0x3f167918, v36
	v_add_f32_e32 v24, v19, v24
	v_fmac_f32_e32 v13, 0xbf167918, v36
	v_fmac_f32_e32 v15, 0xbf167918, v26
	v_add_f32_e32 v19, v22, v25
	v_fmac_f32_e32 v17, 0x3e9e377a, v23
	v_fmac_f32_e32 v21, 0x3e9e377a, v24
	;; [unrolled: 1-line block ×4, first 2 shown]
	s_barrier
	buffer_gl0_inv
	ds_write2_b64 v88, v[18:19], v[16:17] offset1:66
	ds_write2_b64 v88, v[20:21], v[12:13] offset0:132 offset1:198
	ds_write_b64 v88, v[14:15] offset:2112
	s_and_saveexec_b32 s0, s1
	s_cbranch_execz .LBB0_29
; %bb.28:
	v_mul_f32_e32 v12, v5, v8
	v_mul_f32_e32 v13, v7, v10
	v_mul_f32_e32 v14, v3, v71
	v_mul_f32_e32 v15, v1, v48
	v_mul_f32_e32 v16, v1, v49
	v_fma_f32 v12, v4, v9, -v12
	v_mul_f32_e32 v9, v5, v9
	v_fma_f32 v13, v6, v11, -v13
	v_mul_f32_e32 v11, v7, v11
	;; [unrolled: 2-line block ×3, first 2 shown]
	v_fmac_f32_e32 v9, v4, v8
	v_fma_f32 v4, v2, v72, -v14
	v_fmac_f32_e32 v11, v6, v10
	v_sub_f32_e32 v5, v12, v13
	v_fmac_f32_e32 v16, v0, v48
	v_fmac_f32_e32 v17, v2, v71
	v_sub_f32_e32 v6, v4, v7
	v_add_f32_e32 v0, v13, v7
	v_sub_f32_e32 v10, v12, v4
	v_sub_f32_e32 v19, v13, v7
	v_add_f32_e32 v2, v11, v16
	v_add_f32_e32 v20, v6, v5
	;; [unrolled: 1-line block ×4, first 2 shown]
	v_sub_f32_e32 v12, v13, v12
	v_fma_f32 v1, -0.5, v0, v39
	v_sub_f32_e32 v14, v11, v16
	v_add_f32_e32 v6, v13, v6
	v_sub_f32_e32 v13, v7, v4
	v_sub_f32_e32 v15, v9, v11
	;; [unrolled: 1-line block ×3, first 2 shown]
	v_fmac_f32_e32 v39, -0.5, v5
	v_sub_f32_e32 v8, v9, v17
	v_add_f32_e32 v12, v13, v12
	v_add_f32_e32 v13, v17, v9
	v_fma_f32 v0, -0.5, v2, v38
	v_add_f32_e32 v15, v18, v15
	v_add_f32_e32 v18, v38, v9
	v_fmamk_f32 v5, v14, 0x3f737871, v39
	v_fmac_f32_e32 v39, 0xbf737871, v14
	v_add_f32_e32 v6, v7, v6
	v_fmac_f32_e32 v38, -0.5, v13
	v_fmamk_f32 v3, v8, 0x3f737871, v1
	v_fmamk_f32 v2, v10, 0xbf737871, v0
	v_add_f32_e32 v18, v11, v18
	v_fmac_f32_e32 v5, 0xbf167918, v8
	v_fmac_f32_e32 v39, 0x3f167918, v8
	;; [unrolled: 1-line block ×3, first 2 shown]
	v_sub_f32_e32 v8, v11, v9
	v_sub_f32_e32 v9, v16, v17
	v_add_f32_e32 v7, v4, v6
	v_fmamk_f32 v4, v19, 0xbf737871, v38
	v_fmac_f32_e32 v38, 0x3f737871, v19
	v_fmac_f32_e32 v0, 0x3f737871, v10
	;; [unrolled: 1-line block ×4, first 2 shown]
	v_add_f32_e32 v18, v16, v18
	v_add_f32_e32 v8, v9, v8
	v_mov_b32_e32 v9, 3
	v_fmac_f32_e32 v4, 0x3f167918, v10
	v_fmac_f32_e32 v38, 0xbf167918, v10
	;; [unrolled: 1-line block ×6, first 2 shown]
	v_add_f32_e32 v6, v17, v18
	v_lshlrev_b32_sdwa v9, v9, v87 dst_sel:DWORD dst_unused:UNUSED_PAD src0_sel:DWORD src1_sel:WORD_0
	v_fmac_f32_e32 v5, 0x3e9e377a, v12
	v_fmac_f32_e32 v39, 0x3e9e377a, v12
	;; [unrolled: 1-line block ×6, first 2 shown]
	ds_write2_b64 v9, v[6:7], v[2:3] offset1:66
	ds_write2_b64 v9, v[38:39], v[4:5] offset0:132 offset1:198
	ds_write_b64 v9, v[0:1] offset:2112
.LBB0_29:
	s_or_b32 exec_lo, exec_lo, s0
	v_add_nc_u32_e32 v16, 0x800, v77
	v_add_nc_u32_e32 v17, 0x1400, v77
	;; [unrolled: 1-line block ×3, first 2 shown]
	s_waitcnt lgkmcnt(0)
	s_barrier
	buffer_gl0_inv
	ds_read2_b64 v[0:3], v16 offset0:74 offset1:239
	ds_read2_b64 v[4:7], v17 offset0:20 offset1:185
	;; [unrolled: 1-line block ×3, first 2 shown]
	ds_read2_b64 v[12:15], v77 offset1:165
	s_waitcnt lgkmcnt(3)
	v_mul_f32_e32 v19, v29, v1
	v_mul_f32_e32 v20, v29, v0
	s_waitcnt lgkmcnt(2)
	v_mul_f32_e32 v21, v31, v5
	v_mul_f32_e32 v22, v31, v4
	;; [unrolled: 3-line block ×3, first 2 shown]
	v_mul_f32_e32 v25, v33, v3
	v_mul_f32_e32 v26, v33, v2
	;; [unrolled: 1-line block ×6, first 2 shown]
	v_fmac_f32_e32 v19, v28, v0
	v_fma_f32 v0, v28, v1, -v20
	v_fmac_f32_e32 v21, v30, v4
	v_fma_f32 v1, v30, v5, -v22
	;; [unrolled: 2-line block ×6, first 2 shown]
	s_waitcnt lgkmcnt(0)
	v_sub_f32_e32 v6, v12, v21
	v_sub_f32_e32 v7, v19, v23
	;; [unrolled: 1-line block ×5, first 2 shown]
	v_fma_f32 v4, v12, 2.0, -v6
	v_fma_f32 v8, v19, 2.0, -v7
	v_sub_f32_e32 v19, v15, v2
	v_sub_f32_e32 v11, v25, v31
	v_fma_f32 v9, v13, 2.0, -v20
	v_fma_f32 v10, v0, 2.0, -v1
	v_sub_f32_e32 v12, v3, v5
	v_sub_f32_e32 v0, v4, v8
	v_add_f32_e32 v2, v6, v1
	v_fma_f32 v13, v14, 2.0, -v21
	v_sub_f32_e32 v1, v9, v10
	v_fma_f32 v14, v15, 2.0, -v19
	v_fma_f32 v8, v25, 2.0, -v11
	;; [unrolled: 1-line block ×3, first 2 shown]
	v_sub_f32_e32 v3, v20, v7
	v_fma_f32 v5, v9, 2.0, -v1
	v_sub_f32_e32 v11, v19, v11
	v_sub_f32_e32 v8, v13, v8
	;; [unrolled: 1-line block ×3, first 2 shown]
	v_add_f32_e32 v10, v21, v12
	v_fma_f32 v4, v4, 2.0, -v0
	v_fma_f32 v6, v6, 2.0, -v2
	;; [unrolled: 1-line block ×7, first 2 shown]
	ds_write2_b64 v77, v[4:5], v[12:13] offset1:165
	ds_write2_b64 v16, v[6:7], v[14:15] offset0:74 offset1:239
	ds_write2_b64 v17, v[0:1], v[8:9] offset0:20 offset1:185
	;; [unrolled: 1-line block ×3, first 2 shown]
	s_waitcnt lgkmcnt(0)
	s_barrier
	buffer_gl0_inv
	s_and_b32 exec_lo, exec_lo, vcc_lo
	s_cbranch_execz .LBB0_31
; %bb.30:
	v_add_co_u32 v4, s0, s14, v75
	v_add_co_ci_u32_e64 v5, null, s15, 0, s0
	global_load_dwordx2 v[20:21], v75, s[14:15]
	v_add_co_u32 v0, vcc_lo, 0x800, v4
	s_clause 0x1
	global_load_dwordx2 v[22:23], v75, s[14:15] offset:960
	global_load_dwordx2 v[24:25], v75, s[14:15] offset:1920
	v_add_co_ci_u32_e32 v1, vcc_lo, 0, v5, vcc_lo
	v_add_co_u32 v2, vcc_lo, 0x1000, v4
	v_add_co_ci_u32_e32 v3, vcc_lo, 0, v5, vcc_lo
	s_clause 0x3
	global_load_dwordx2 v[26:27], v[0:1], off offset:832
	global_load_dwordx2 v[28:29], v[0:1], off offset:1792
	;; [unrolled: 1-line block ×4, first 2 shown]
	v_add_co_u32 v0, vcc_lo, 0x1800, v4
	v_add_co_ci_u32_e32 v1, vcc_lo, 0, v5, vcc_lo
	v_add_co_u32 v2, vcc_lo, 0x2000, v4
	v_add_co_ci_u32_e32 v3, vcc_lo, 0, v5, vcc_lo
	s_clause 0x3
	global_load_dwordx2 v[34:35], v[0:1], off offset:576
	global_load_dwordx2 v[36:37], v[0:1], off offset:1536
	;; [unrolled: 1-line block ×4, first 2 shown]
	v_mad_u64_u32 v[4:5], null, s6, v56, 0
	v_mad_u64_u32 v[6:7], null, s4, v76, 0
	ds_read_b64 v[42:43], v77
	v_add_nc_u32_e32 v9, 0x1000, v75
	v_add_nc_u32_e32 v12, 0x1800, v75
	;; [unrolled: 1-line block ×3, first 2 shown]
	v_mov_b32_e32 v0, v5
	s_mul_i32 s2, s5, 0x3c0
	v_mov_b32_e32 v1, v7
	ds_read2_b64 v[12:15], v12 offset0:72 offset1:192
	ds_read2_b64 v[16:19], v16 offset0:56 offset1:176
	s_mul_hi_u32 s3, s4, 0x3c0
	s_mulk_i32 s4, 0x3c0
	v_mad_u64_u32 v[2:3], null, s7, v56, v[0:1]
	s_mov_b32 s0, 0x8d3018d3
	s_add_i32 s3, s3, s2
	s_mov_b32 s1, 0x3f48d301
	v_mov_b32_e32 v5, v2
	v_mad_u64_u32 v[7:8], null, s5, v76, v[1:2]
	ds_read2_b64 v[0:3], v75 offset0:120 offset1:240
	v_add_nc_u32_e32 v8, 0x800, v75
	v_lshlrev_b64 v[4:5], 3, v[4:5]
	v_lshlrev_b64 v[6:7], 3, v[6:7]
	v_add_co_u32 v4, vcc_lo, s12, v4
	v_add_co_ci_u32_e32 v5, vcc_lo, s13, v5, vcc_lo
	v_add_co_u32 v44, vcc_lo, v4, v6
	v_add_co_ci_u32_e32 v45, vcc_lo, v5, v7, vcc_lo
	ds_read2_b64 v[4:7], v8 offset0:104 offset1:224
	ds_read2_b64 v[8:11], v9 offset0:88 offset1:208
	v_add_co_u32 v46, vcc_lo, v44, s4
	v_add_co_ci_u32_e32 v47, vcc_lo, s3, v45, vcc_lo
	v_add_co_u32 v48, vcc_lo, v46, s4
	v_add_co_ci_u32_e32 v49, vcc_lo, s3, v47, vcc_lo
	;; [unrolled: 2-line block ×7, first 2 shown]
	s_waitcnt vmcnt(10) lgkmcnt(5)
	v_mul_f32_e32 v60, v43, v21
	v_mul_f32_e32 v21, v42, v21
	s_waitcnt vmcnt(9) lgkmcnt(2)
	v_mul_f32_e32 v61, v1, v23
	s_waitcnt vmcnt(8)
	v_mul_f32_e32 v62, v3, v25
	v_mul_f32_e32 v23, v0, v23
	v_fmac_f32_e32 v60, v42, v20
	v_mul_f32_e32 v25, v2, v25
	v_fma_f32 v20, v20, v43, -v21
	v_fmac_f32_e32 v61, v0, v22
	v_fmac_f32_e32 v62, v2, v24
	v_fma_f32 v22, v22, v1, -v23
	v_cvt_f64_f32_e32 v[0:1], v60
	s_waitcnt vmcnt(7) lgkmcnt(1)
	v_mul_f32_e32 v60, v5, v27
	v_mul_f32_e32 v27, v4, v27
	v_fma_f32 v42, v24, v3, -v25
	v_cvt_f64_f32_e32 v[2:3], v20
	v_cvt_f64_f32_e32 v[20:21], v61
	s_waitcnt vmcnt(6)
	v_mul_f32_e32 v61, v7, v29
	v_mul_f32_e32 v29, v6, v29
	v_cvt_f64_f32_e32 v[24:25], v62
	s_waitcnt vmcnt(5) lgkmcnt(0)
	v_mul_f32_e32 v62, v9, v31
	v_mul_f32_e32 v31, v8, v31
	s_waitcnt vmcnt(4)
	v_mul_f32_e32 v63, v11, v33
	v_mul_f32_e32 v33, v10, v33
	s_waitcnt vmcnt(3)
	;; [unrolled: 3-line block ×3, first 2 shown]
	v_mul_f32_e32 v65, v15, v37
	v_mul_f32_e32 v37, v14, v37
	v_fmac_f32_e32 v60, v4, v26
	v_fma_f32 v26, v26, v5, -v27
	s_waitcnt vmcnt(1)
	v_mul_f32_e32 v66, v17, v39
	v_mul_f32_e32 v39, v16, v39
	v_fmac_f32_e32 v61, v6, v28
	v_fma_f32 v27, v28, v7, -v29
	s_waitcnt vmcnt(0)
	v_mul_f32_e32 v67, v19, v41
	v_mul_f32_e32 v41, v18, v41
	v_fmac_f32_e32 v62, v8, v30
	v_fma_f32 v28, v30, v9, -v31
	v_cvt_f64_f32_e32 v[22:23], v22
	v_fmac_f32_e32 v63, v10, v32
	v_fma_f32 v29, v32, v11, -v33
	v_cvt_f64_f32_e32 v[42:43], v42
	v_fmac_f32_e32 v64, v12, v34
	v_fma_f32 v30, v34, v13, -v35
	v_fmac_f32_e32 v65, v14, v36
	v_fma_f32 v32, v36, v15, -v37
	v_cvt_f64_f32_e32 v[4:5], v60
	v_cvt_f64_f32_e32 v[6:7], v26
	v_fmac_f32_e32 v66, v16, v38
	v_fma_f32 v36, v38, v17, -v39
	v_cvt_f64_f32_e32 v[8:9], v61
	v_cvt_f64_f32_e32 v[10:11], v27
	;; [unrolled: 4-line block ×3, first 2 shown]
	v_cvt_f64_f32_e32 v[16:17], v63
	v_cvt_f64_f32_e32 v[18:19], v29
	;; [unrolled: 1-line block ×10, first 2 shown]
	v_mul_f64 v[0:1], v[0:1], s[0:1]
	v_mul_f64 v[2:3], v[2:3], s[0:1]
	;; [unrolled: 1-line block ×22, first 2 shown]
	v_cvt_f32_f64_e32 v0, v[0:1]
	v_cvt_f32_f64_e32 v1, v[2:3]
	;; [unrolled: 1-line block ×22, first 2 shown]
	v_add_co_u32 v22, vcc_lo, v58, s4
	v_add_co_ci_u32_e32 v23, vcc_lo, s3, v59, vcc_lo
	v_add_co_u32 v24, vcc_lo, v22, s4
	v_add_co_ci_u32_e32 v25, vcc_lo, s3, v23, vcc_lo
	;; [unrolled: 2-line block ×3, first 2 shown]
	global_store_dwordx2 v[44:45], v[0:1], off
	global_store_dwordx2 v[46:47], v[2:3], off
	global_store_dwordx2 v[48:49], v[20:21], off
	global_store_dwordx2 v[50:51], v[4:5], off
	global_store_dwordx2 v[52:53], v[6:7], off
	global_store_dwordx2 v[54:55], v[8:9], off
	global_store_dwordx2 v[56:57], v[10:11], off
	global_store_dwordx2 v[58:59], v[12:13], off
	global_store_dwordx2 v[22:23], v[14:15], off
	global_store_dwordx2 v[24:25], v[16:17], off
	global_store_dwordx2 v[26:27], v[18:19], off
.LBB0_31:
	s_endpgm
	.section	.rodata,"a",@progbits
	.p2align	6, 0x0
	.amdhsa_kernel bluestein_single_fwd_len1320_dim1_sp_op_CI_CI
		.amdhsa_group_segment_fixed_size 10560
		.amdhsa_private_segment_fixed_size 0
		.amdhsa_kernarg_size 104
		.amdhsa_user_sgpr_count 6
		.amdhsa_user_sgpr_private_segment_buffer 1
		.amdhsa_user_sgpr_dispatch_ptr 0
		.amdhsa_user_sgpr_queue_ptr 0
		.amdhsa_user_sgpr_kernarg_segment_ptr 1
		.amdhsa_user_sgpr_dispatch_id 0
		.amdhsa_user_sgpr_flat_scratch_init 0
		.amdhsa_user_sgpr_private_segment_size 0
		.amdhsa_wavefront_size32 1
		.amdhsa_uses_dynamic_stack 0
		.amdhsa_system_sgpr_private_segment_wavefront_offset 0
		.amdhsa_system_sgpr_workgroup_id_x 1
		.amdhsa_system_sgpr_workgroup_id_y 0
		.amdhsa_system_sgpr_workgroup_id_z 0
		.amdhsa_system_sgpr_workgroup_info 0
		.amdhsa_system_vgpr_workitem_id 0
		.amdhsa_next_free_vgpr 165
		.amdhsa_next_free_sgpr 16
		.amdhsa_reserve_vcc 1
		.amdhsa_reserve_flat_scratch 0
		.amdhsa_float_round_mode_32 0
		.amdhsa_float_round_mode_16_64 0
		.amdhsa_float_denorm_mode_32 3
		.amdhsa_float_denorm_mode_16_64 3
		.amdhsa_dx10_clamp 1
		.amdhsa_ieee_mode 1
		.amdhsa_fp16_overflow 0
		.amdhsa_workgroup_processor_mode 1
		.amdhsa_memory_ordered 1
		.amdhsa_forward_progress 0
		.amdhsa_shared_vgpr_count 0
		.amdhsa_exception_fp_ieee_invalid_op 0
		.amdhsa_exception_fp_denorm_src 0
		.amdhsa_exception_fp_ieee_div_zero 0
		.amdhsa_exception_fp_ieee_overflow 0
		.amdhsa_exception_fp_ieee_underflow 0
		.amdhsa_exception_fp_ieee_inexact 0
		.amdhsa_exception_int_div_zero 0
	.end_amdhsa_kernel
	.text
.Lfunc_end0:
	.size	bluestein_single_fwd_len1320_dim1_sp_op_CI_CI, .Lfunc_end0-bluestein_single_fwd_len1320_dim1_sp_op_CI_CI
                                        ; -- End function
	.section	.AMDGPU.csdata,"",@progbits
; Kernel info:
; codeLenInByte = 12972
; NumSgprs: 18
; NumVgprs: 165
; ScratchSize: 0
; MemoryBound: 0
; FloatMode: 240
; IeeeMode: 1
; LDSByteSize: 10560 bytes/workgroup (compile time only)
; SGPRBlocks: 2
; VGPRBlocks: 20
; NumSGPRsForWavesPerEU: 18
; NumVGPRsForWavesPerEU: 165
; Occupancy: 5
; WaveLimiterHint : 1
; COMPUTE_PGM_RSRC2:SCRATCH_EN: 0
; COMPUTE_PGM_RSRC2:USER_SGPR: 6
; COMPUTE_PGM_RSRC2:TRAP_HANDLER: 0
; COMPUTE_PGM_RSRC2:TGID_X_EN: 1
; COMPUTE_PGM_RSRC2:TGID_Y_EN: 0
; COMPUTE_PGM_RSRC2:TGID_Z_EN: 0
; COMPUTE_PGM_RSRC2:TIDIG_COMP_CNT: 0
	.text
	.p2alignl 6, 3214868480
	.fill 48, 4, 3214868480
	.type	__hip_cuid_8ecb1f816824306b,@object ; @__hip_cuid_8ecb1f816824306b
	.section	.bss,"aw",@nobits
	.globl	__hip_cuid_8ecb1f816824306b
__hip_cuid_8ecb1f816824306b:
	.byte	0                               ; 0x0
	.size	__hip_cuid_8ecb1f816824306b, 1

	.ident	"AMD clang version 19.0.0git (https://github.com/RadeonOpenCompute/llvm-project roc-6.4.0 25133 c7fe45cf4b819c5991fe208aaa96edf142730f1d)"
	.section	".note.GNU-stack","",@progbits
	.addrsig
	.addrsig_sym __hip_cuid_8ecb1f816824306b
	.amdgpu_metadata
---
amdhsa.kernels:
  - .args:
      - .actual_access:  read_only
        .address_space:  global
        .offset:         0
        .size:           8
        .value_kind:     global_buffer
      - .actual_access:  read_only
        .address_space:  global
        .offset:         8
        .size:           8
        .value_kind:     global_buffer
      - .actual_access:  read_only
        .address_space:  global
        .offset:         16
        .size:           8
        .value_kind:     global_buffer
      - .actual_access:  read_only
        .address_space:  global
        .offset:         24
        .size:           8
        .value_kind:     global_buffer
      - .actual_access:  read_only
        .address_space:  global
        .offset:         32
        .size:           8
        .value_kind:     global_buffer
      - .offset:         40
        .size:           8
        .value_kind:     by_value
      - .address_space:  global
        .offset:         48
        .size:           8
        .value_kind:     global_buffer
      - .address_space:  global
        .offset:         56
        .size:           8
        .value_kind:     global_buffer
      - .address_space:  global
        .offset:         64
        .size:           8
        .value_kind:     global_buffer
      - .address_space:  global
        .offset:         72
        .size:           8
        .value_kind:     global_buffer
      - .offset:         80
        .size:           4
        .value_kind:     by_value
      - .address_space:  global
        .offset:         88
        .size:           8
        .value_kind:     global_buffer
      - .address_space:  global
        .offset:         96
        .size:           8
        .value_kind:     global_buffer
    .group_segment_fixed_size: 10560
    .kernarg_segment_align: 8
    .kernarg_segment_size: 104
    .language:       OpenCL C
    .language_version:
      - 2
      - 0
    .max_flat_workgroup_size: 165
    .name:           bluestein_single_fwd_len1320_dim1_sp_op_CI_CI
    .private_segment_fixed_size: 0
    .sgpr_count:     18
    .sgpr_spill_count: 0
    .symbol:         bluestein_single_fwd_len1320_dim1_sp_op_CI_CI.kd
    .uniform_work_group_size: 1
    .uses_dynamic_stack: false
    .vgpr_count:     165
    .vgpr_spill_count: 0
    .wavefront_size: 32
    .workgroup_processor_mode: 1
amdhsa.target:   amdgcn-amd-amdhsa--gfx1030
amdhsa.version:
  - 1
  - 2
...

	.end_amdgpu_metadata
